;; amdgpu-corpus repo=ROCm/rocFFT kind=compiled arch=gfx1201 opt=O3
	.text
	.amdgcn_target "amdgcn-amd-amdhsa--gfx1201"
	.amdhsa_code_object_version 6
	.protected	fft_rtc_fwd_len1020_factors_2_17_2_3_5_wgs_204_tpt_68_halfLds_sp_ip_CI_unitstride_sbrr_dirReg ; -- Begin function fft_rtc_fwd_len1020_factors_2_17_2_3_5_wgs_204_tpt_68_halfLds_sp_ip_CI_unitstride_sbrr_dirReg
	.globl	fft_rtc_fwd_len1020_factors_2_17_2_3_5_wgs_204_tpt_68_halfLds_sp_ip_CI_unitstride_sbrr_dirReg
	.p2align	8
	.type	fft_rtc_fwd_len1020_factors_2_17_2_3_5_wgs_204_tpt_68_halfLds_sp_ip_CI_unitstride_sbrr_dirReg,@function
fft_rtc_fwd_len1020_factors_2_17_2_3_5_wgs_204_tpt_68_halfLds_sp_ip_CI_unitstride_sbrr_dirReg: ; @fft_rtc_fwd_len1020_factors_2_17_2_3_5_wgs_204_tpt_68_halfLds_sp_ip_CI_unitstride_sbrr_dirReg
; %bb.0:
	s_load_b128 s[4:7], s[0:1], 0x0
	v_mul_u32_u24_e32 v1, 0x3c4, v0
	s_clause 0x1
	s_load_b64 s[8:9], s[0:1], 0x50
	s_load_b64 s[10:11], s[0:1], 0x18
	v_mov_b32_e32 v6, 0
	v_lshrrev_b32_e32 v1, 16, v1
	s_delay_alu instid0(VALU_DEP_1) | instskip(SKIP_1) | instid1(VALU_DEP_4)
	v_mad_co_u64_u32 v[4:5], null, ttmp9, 3, v[1:2]
	v_mov_b32_e32 v1, 0
	v_dual_mov_b32 v5, v6 :: v_dual_mov_b32 v2, 0
	s_delay_alu instid0(VALU_DEP_1) | instskip(SKIP_2) | instid1(VALU_DEP_1)
	v_dual_mov_b32 v11, v5 :: v_dual_mov_b32 v10, v4
	s_wait_kmcnt 0x0
	v_cmp_lt_u64_e64 s2, s[6:7], 2
	s_and_b32 vcc_lo, exec_lo, s2
	s_cbranch_vccnz .LBB0_8
; %bb.1:
	s_load_b64 s[2:3], s[0:1], 0x10
	v_mov_b32_e32 v1, 0
	v_dual_mov_b32 v2, 0 :: v_dual_mov_b32 v9, v5
	v_mov_b32_e32 v8, v4
	s_add_nc_u64 s[12:13], s[10:11], 8
	s_mov_b64 s[14:15], 1
	s_wait_kmcnt 0x0
	s_add_nc_u64 s[16:17], s[2:3], 8
	s_mov_b32 s3, 0
.LBB0_2:                                ; =>This Inner Loop Header: Depth=1
	s_load_b64 s[18:19], s[16:17], 0x0
                                        ; implicit-def: $vgpr10_vgpr11
	s_mov_b32 s2, exec_lo
	s_wait_kmcnt 0x0
	v_or_b32_e32 v7, s19, v9
	s_delay_alu instid0(VALU_DEP_1)
	v_cmpx_ne_u64_e32 0, v[6:7]
	s_wait_alu 0xfffe
	s_xor_b32 s20, exec_lo, s2
	s_cbranch_execz .LBB0_4
; %bb.3:                                ;   in Loop: Header=BB0_2 Depth=1
	s_cvt_f32_u32 s2, s18
	s_cvt_f32_u32 s21, s19
	s_sub_nc_u64 s[24:25], 0, s[18:19]
	s_wait_alu 0xfffe
	s_delay_alu instid0(SALU_CYCLE_1) | instskip(SKIP_1) | instid1(SALU_CYCLE_2)
	s_fmamk_f32 s2, s21, 0x4f800000, s2
	s_wait_alu 0xfffe
	v_s_rcp_f32 s2, s2
	s_delay_alu instid0(TRANS32_DEP_1) | instskip(SKIP_1) | instid1(SALU_CYCLE_2)
	s_mul_f32 s2, s2, 0x5f7ffffc
	s_wait_alu 0xfffe
	s_mul_f32 s21, s2, 0x2f800000
	s_wait_alu 0xfffe
	s_delay_alu instid0(SALU_CYCLE_2) | instskip(SKIP_1) | instid1(SALU_CYCLE_2)
	s_trunc_f32 s21, s21
	s_wait_alu 0xfffe
	s_fmamk_f32 s2, s21, 0xcf800000, s2
	s_cvt_u32_f32 s23, s21
	s_wait_alu 0xfffe
	s_delay_alu instid0(SALU_CYCLE_1) | instskip(SKIP_1) | instid1(SALU_CYCLE_2)
	s_cvt_u32_f32 s22, s2
	s_wait_alu 0xfffe
	s_mul_u64 s[26:27], s[24:25], s[22:23]
	s_wait_alu 0xfffe
	s_mul_hi_u32 s29, s22, s27
	s_mul_i32 s28, s22, s27
	s_mul_hi_u32 s2, s22, s26
	s_mul_i32 s30, s23, s26
	s_wait_alu 0xfffe
	s_add_nc_u64 s[28:29], s[2:3], s[28:29]
	s_mul_hi_u32 s21, s23, s26
	s_mul_hi_u32 s31, s23, s27
	s_add_co_u32 s2, s28, s30
	s_wait_alu 0xfffe
	s_add_co_ci_u32 s2, s29, s21
	s_mul_i32 s26, s23, s27
	s_add_co_ci_u32 s27, s31, 0
	s_wait_alu 0xfffe
	s_add_nc_u64 s[26:27], s[2:3], s[26:27]
	s_wait_alu 0xfffe
	v_add_co_u32 v3, s2, s22, s26
	s_delay_alu instid0(VALU_DEP_1) | instskip(SKIP_1) | instid1(VALU_DEP_1)
	s_cmp_lg_u32 s2, 0
	s_add_co_ci_u32 s23, s23, s27
	v_readfirstlane_b32 s22, v3
	s_wait_alu 0xfffe
	s_delay_alu instid0(VALU_DEP_1)
	s_mul_u64 s[24:25], s[24:25], s[22:23]
	s_wait_alu 0xfffe
	s_mul_hi_u32 s27, s22, s25
	s_mul_i32 s26, s22, s25
	s_mul_hi_u32 s2, s22, s24
	s_mul_i32 s28, s23, s24
	s_wait_alu 0xfffe
	s_add_nc_u64 s[26:27], s[2:3], s[26:27]
	s_mul_hi_u32 s21, s23, s24
	s_mul_hi_u32 s22, s23, s25
	s_wait_alu 0xfffe
	s_add_co_u32 s2, s26, s28
	s_add_co_ci_u32 s2, s27, s21
	s_mul_i32 s24, s23, s25
	s_add_co_ci_u32 s25, s22, 0
	s_wait_alu 0xfffe
	s_add_nc_u64 s[24:25], s[2:3], s[24:25]
	s_wait_alu 0xfffe
	v_add_co_u32 v3, s2, v3, s24
	s_delay_alu instid0(VALU_DEP_1) | instskip(SKIP_1) | instid1(VALU_DEP_1)
	s_cmp_lg_u32 s2, 0
	s_add_co_ci_u32 s2, s23, s25
	v_mul_hi_u32 v5, v8, v3
	s_wait_alu 0xfffe
	v_mad_co_u64_u32 v[10:11], null, v8, s2, 0
	v_mad_co_u64_u32 v[12:13], null, v9, v3, 0
	;; [unrolled: 1-line block ×3, first 2 shown]
	s_delay_alu instid0(VALU_DEP_3) | instskip(SKIP_1) | instid1(VALU_DEP_4)
	v_add_co_u32 v3, vcc_lo, v5, v10
	s_wait_alu 0xfffd
	v_add_co_ci_u32_e32 v5, vcc_lo, 0, v11, vcc_lo
	s_delay_alu instid0(VALU_DEP_2) | instskip(SKIP_1) | instid1(VALU_DEP_2)
	v_add_co_u32 v3, vcc_lo, v3, v12
	s_wait_alu 0xfffd
	v_add_co_ci_u32_e32 v3, vcc_lo, v5, v13, vcc_lo
	s_wait_alu 0xfffd
	v_add_co_ci_u32_e32 v5, vcc_lo, 0, v15, vcc_lo
	s_delay_alu instid0(VALU_DEP_2) | instskip(SKIP_1) | instid1(VALU_DEP_2)
	v_add_co_u32 v3, vcc_lo, v3, v14
	s_wait_alu 0xfffd
	v_add_co_ci_u32_e32 v5, vcc_lo, 0, v5, vcc_lo
	s_delay_alu instid0(VALU_DEP_2) | instskip(SKIP_1) | instid1(VALU_DEP_3)
	v_mul_lo_u32 v7, s19, v3
	v_mad_co_u64_u32 v[10:11], null, s18, v3, 0
	v_mul_lo_u32 v12, s18, v5
	s_delay_alu instid0(VALU_DEP_2) | instskip(NEXT) | instid1(VALU_DEP_2)
	v_sub_co_u32 v10, vcc_lo, v8, v10
	v_add3_u32 v7, v11, v12, v7
	s_delay_alu instid0(VALU_DEP_1) | instskip(SKIP_1) | instid1(VALU_DEP_1)
	v_sub_nc_u32_e32 v11, v9, v7
	s_wait_alu 0xfffd
	v_subrev_co_ci_u32_e64 v11, s2, s19, v11, vcc_lo
	v_add_co_u32 v12, s2, v3, 2
	s_wait_alu 0xf1ff
	v_add_co_ci_u32_e64 v13, s2, 0, v5, s2
	v_sub_co_u32 v14, s2, v10, s18
	v_sub_co_ci_u32_e32 v7, vcc_lo, v9, v7, vcc_lo
	s_wait_alu 0xf1ff
	v_subrev_co_ci_u32_e64 v11, s2, 0, v11, s2
	s_delay_alu instid0(VALU_DEP_3) | instskip(NEXT) | instid1(VALU_DEP_3)
	v_cmp_le_u32_e32 vcc_lo, s18, v14
	v_cmp_eq_u32_e64 s2, s19, v7
	s_wait_alu 0xfffd
	v_cndmask_b32_e64 v14, 0, -1, vcc_lo
	v_cmp_le_u32_e32 vcc_lo, s19, v11
	s_wait_alu 0xfffd
	v_cndmask_b32_e64 v15, 0, -1, vcc_lo
	v_cmp_le_u32_e32 vcc_lo, s18, v10
	;; [unrolled: 3-line block ×3, first 2 shown]
	s_wait_alu 0xfffd
	v_cndmask_b32_e64 v16, 0, -1, vcc_lo
	v_cmp_eq_u32_e32 vcc_lo, s19, v11
	s_wait_alu 0xf1ff
	s_delay_alu instid0(VALU_DEP_2)
	v_cndmask_b32_e64 v7, v16, v10, s2
	s_wait_alu 0xfffd
	v_cndmask_b32_e32 v11, v15, v14, vcc_lo
	v_add_co_u32 v14, vcc_lo, v3, 1
	s_wait_alu 0xfffd
	v_add_co_ci_u32_e32 v15, vcc_lo, 0, v5, vcc_lo
	s_delay_alu instid0(VALU_DEP_3) | instskip(SKIP_2) | instid1(VALU_DEP_3)
	v_cmp_ne_u32_e32 vcc_lo, 0, v11
	s_wait_alu 0xfffd
	v_cndmask_b32_e32 v12, v14, v12, vcc_lo
	v_cndmask_b32_e32 v10, v15, v13, vcc_lo
	v_cmp_ne_u32_e32 vcc_lo, 0, v7
	s_wait_alu 0xfffd
	s_delay_alu instid0(VALU_DEP_2)
	v_dual_cndmask_b32 v11, v5, v10 :: v_dual_cndmask_b32 v10, v3, v12
.LBB0_4:                                ;   in Loop: Header=BB0_2 Depth=1
	s_wait_alu 0xfffe
	s_and_not1_saveexec_b32 s2, s20
	s_cbranch_execz .LBB0_6
; %bb.5:                                ;   in Loop: Header=BB0_2 Depth=1
	v_cvt_f32_u32_e32 v3, s18
	s_sub_co_i32 s20, 0, s18
	v_mov_b32_e32 v11, v6
	s_delay_alu instid0(VALU_DEP_2) | instskip(NEXT) | instid1(TRANS32_DEP_1)
	v_rcp_iflag_f32_e32 v3, v3
	v_mul_f32_e32 v3, 0x4f7ffffe, v3
	s_delay_alu instid0(VALU_DEP_1) | instskip(SKIP_1) | instid1(VALU_DEP_1)
	v_cvt_u32_f32_e32 v3, v3
	s_wait_alu 0xfffe
	v_mul_lo_u32 v5, s20, v3
	s_delay_alu instid0(VALU_DEP_1) | instskip(NEXT) | instid1(VALU_DEP_1)
	v_mul_hi_u32 v5, v3, v5
	v_add_nc_u32_e32 v3, v3, v5
	s_delay_alu instid0(VALU_DEP_1) | instskip(NEXT) | instid1(VALU_DEP_1)
	v_mul_hi_u32 v3, v8, v3
	v_mul_lo_u32 v5, v3, s18
	v_add_nc_u32_e32 v7, 1, v3
	s_delay_alu instid0(VALU_DEP_2) | instskip(NEXT) | instid1(VALU_DEP_1)
	v_sub_nc_u32_e32 v5, v8, v5
	v_cmp_le_u32_e32 vcc_lo, s18, v5
	v_subrev_nc_u32_e32 v10, s18, v5
	s_wait_alu 0xfffd
	v_cndmask_b32_e32 v3, v3, v7, vcc_lo
	s_delay_alu instid0(VALU_DEP_1) | instskip(NEXT) | instid1(VALU_DEP_3)
	v_add_nc_u32_e32 v7, 1, v3
	v_cndmask_b32_e32 v5, v5, v10, vcc_lo
	s_delay_alu instid0(VALU_DEP_1) | instskip(SKIP_1) | instid1(VALU_DEP_3)
	v_cmp_le_u32_e32 vcc_lo, s18, v5
	s_wait_alu 0xfffd
	v_cndmask_b32_e32 v10, v3, v7, vcc_lo
.LBB0_6:                                ;   in Loop: Header=BB0_2 Depth=1
	s_wait_alu 0xfffe
	s_or_b32 exec_lo, exec_lo, s2
	s_load_b64 s[20:21], s[12:13], 0x0
	v_mul_lo_u32 v3, v11, s18
	v_mul_lo_u32 v5, v10, s19
	v_mad_co_u64_u32 v[12:13], null, v10, s18, 0
	s_add_nc_u64 s[14:15], s[14:15], 1
	s_add_nc_u64 s[12:13], s[12:13], 8
	s_wait_alu 0xfffe
	v_cmp_ge_u64_e64 s2, s[14:15], s[6:7]
	s_add_nc_u64 s[16:17], s[16:17], 8
	s_delay_alu instid0(VALU_DEP_2) | instskip(NEXT) | instid1(VALU_DEP_3)
	v_add3_u32 v3, v13, v5, v3
	v_sub_co_u32 v5, vcc_lo, v8, v12
	s_wait_alu 0xfffd
	s_delay_alu instid0(VALU_DEP_2) | instskip(SKIP_3) | instid1(VALU_DEP_2)
	v_sub_co_ci_u32_e32 v3, vcc_lo, v9, v3, vcc_lo
	s_and_b32 vcc_lo, exec_lo, s2
	s_wait_kmcnt 0x0
	v_mul_lo_u32 v7, s21, v5
	v_mul_lo_u32 v3, s20, v3
	v_mad_co_u64_u32 v[1:2], null, s20, v5, v[1:2]
	s_delay_alu instid0(VALU_DEP_1)
	v_add3_u32 v2, v7, v2, v3
	s_wait_alu 0xfffe
	s_cbranch_vccnz .LBB0_8
; %bb.7:                                ;   in Loop: Header=BB0_2 Depth=1
	v_dual_mov_b32 v8, v10 :: v_dual_mov_b32 v9, v11
	s_branch .LBB0_2
.LBB0_8:
	s_lshl_b64 s[2:3], s[6:7], 3
	v_mul_hi_u32 v3, 0x3c3c3c4, v0
	s_wait_alu 0xfffe
	s_add_nc_u64 s[2:3], s[10:11], s[2:3]
	v_mov_b32_e32 v23, 0
	s_load_b64 s[2:3], s[2:3], 0x0
	s_load_b64 s[0:1], s[0:1], 0x20
                                        ; implicit-def: $vgpr25
                                        ; implicit-def: $vgpr29
                                        ; implicit-def: $vgpr39
                                        ; implicit-def: $vgpr31
                                        ; implicit-def: $vgpr43
                                        ; implicit-def: $vgpr27
                                        ; implicit-def: $vgpr41
                                        ; implicit-def: $vgpr33
                                        ; implicit-def: $vgpr35
                                        ; implicit-def: $vgpr37
                                        ; implicit-def: $vgpr52
                                        ; implicit-def: $vgpr46
                                        ; implicit-def: $vgpr50
                                        ; implicit-def: $vgpr48
	s_delay_alu instid0(VALU_DEP_2) | instskip(NEXT) | instid1(VALU_DEP_1)
	v_mul_u32_u24_e32 v3, 0x44, v3
	v_sub_nc_u32_e32 v0, v0, v3
	s_wait_kmcnt 0x0
	v_mul_lo_u32 v5, s2, v11
	v_mul_lo_u32 v6, s3, v10
	v_mad_co_u64_u32 v[1:2], null, s2, v10, v[1:2]
	v_cmp_gt_u64_e32 vcc_lo, s[0:1], v[10:11]
	s_delay_alu instid0(VALU_DEP_2) | instskip(NEXT) | instid1(VALU_DEP_1)
	v_add3_u32 v2, v6, v2, v5
                                        ; implicit-def: $vgpr6
	v_lshlrev_b64_e32 v[2:3], 3, v[1:2]
	v_mov_b32_e32 v1, 0
	s_and_saveexec_b32 s1, vcc_lo
	s_cbranch_execz .LBB0_12
; %bb.9:
	v_mov_b32_e32 v1, 0
	s_delay_alu instid0(VALU_DEP_3) | instskip(SKIP_2) | instid1(VALU_DEP_3)
	v_add_co_u32 v7, s0, s8, v2
	s_wait_alu 0xf1ff
	v_add_co_ci_u32_e64 v8, s0, s9, v3, s0
	v_lshlrev_b64_e32 v[5:6], 3, v[0:1]
	v_mov_b32_e32 v23, v1
	s_mov_b32 s2, exec_lo
                                        ; implicit-def: $vgpr51
	s_delay_alu instid0(VALU_DEP_2) | instskip(SKIP_1) | instid1(VALU_DEP_3)
	v_add_co_u32 v7, s0, v7, v5
	s_wait_alu 0xf1ff
	v_add_co_ci_u32_e64 v8, s0, v8, v6, s0
	s_clause 0xd
	global_load_b64 v[24:25], v[7:8], off
	global_load_b64 v[28:29], v[7:8], off offset:544
	global_load_b64 v[30:31], v[7:8], off offset:1088
	;; [unrolled: 1-line block ×13, first 2 shown]
	v_cmpx_gt_u32_e32 34, v0
	s_cbranch_execz .LBB0_11
; %bb.10:
	s_clause 0x1
	global_load_b64 v[22:23], v[7:8], off offset:3808
	global_load_b64 v[51:52], v[7:8], off offset:7888
	s_wait_loadcnt 0x1
	v_mov_b32_e32 v1, v22
.LBB0_11:
	s_wait_alu 0xfffe
	s_or_b32 exec_lo, exec_lo, s2
.LBB0_12:
	s_wait_alu 0xfffe
	s_or_b32 exec_lo, exec_lo, s1
	v_mul_hi_u32 v7, 0xaaaaaaab, v4
	s_wait_loadcnt 0x3
	v_sub_f32_e32 v8, v24, v5
	v_sub_f32_e32 v22, v28, v38
	v_dual_sub_f32 v20, v30, v42 :: v_dual_add_nc_u32 v53, 0xcc, v0
	s_wait_loadcnt 0x0
	v_sub_f32_e32 v10, v1, v51
	v_sub_f32_e32 v12, v36, v45
	v_add_nc_u32_e32 v54, 0x110, v0
	v_lshrrev_b32_e32 v5, 1, v7
	v_add_nc_u32_e32 v42, 0x198, v0
	v_fma_f32 v9, v1, 2.0, -v10
	v_lshlrev_b32_e32 v1, 3, v53
	v_lshlrev_b32_e32 v38, 3, v0
	v_lshl_add_u32 v5, v5, 1, v5
	v_fma_f32 v19, v30, 2.0, -v20
	v_cmp_gt_u32_e64 s0, 34, v0
	s_delay_alu instid0(VALU_DEP_3) | instskip(NEXT) | instid1(VALU_DEP_1)
	v_sub_nc_u32_e32 v4, v4, v5
	v_mul_u32_u24_e32 v4, 0x3fc, v4
	v_dual_sub_f32 v16, v32, v47 :: v_dual_add_nc_u32 v47, 0x88, v0
	v_sub_f32_e32 v18, v26, v40
	v_add_nc_u32_e32 v40, 0x154, v0
	v_dual_sub_f32 v14, v34, v49 :: v_dual_add_nc_u32 v49, 0x44, v0
	v_lshlrev_b32_e32 v51, 2, v4
	v_lshlrev_b32_e32 v5, 3, v47
	v_fma_f32 v7, v24, 2.0, -v8
	v_lshlrev_b32_e32 v24, 3, v42
	v_lshlrev_b32_e32 v4, 3, v49
	v_add3_u32 v56, 0, v1, v51
	v_add_nc_u32_e32 v1, 0x1dc, v0
	v_fma_f32 v11, v36, 2.0, -v12
	v_add3_u32 v36, 0, v5, v51
	v_lshlrev_b32_e32 v5, 3, v40
	v_add3_u32 v57, 0, v4, v51
	v_lshlrev_b32_e32 v4, 3, v54
	v_fma_f32 v21, v28, 2.0, -v22
	v_fma_f32 v17, v26, 2.0, -v18
	;; [unrolled: 1-line block ×4, first 2 shown]
	v_add3_u32 v59, 0, v38, v51
	v_add3_u32 v60, 0, v4, v51
	;; [unrolled: 1-line block ×4, first 2 shown]
	v_lshlrev_b32_e32 v34, 3, v1
	ds_store_b64 v59, v[7:8]
	ds_store_b64 v57, v[21:22]
	;; [unrolled: 1-line block ×7, first 2 shown]
	s_and_saveexec_b32 s1, s0
	s_cbranch_execz .LBB0_14
; %bb.13:
	v_add3_u32 v4, 0, v34, v51
	ds_store_b64 v4, v[9:10]
.LBB0_14:
	s_wait_alu 0xfffe
	s_or_b32 exec_lo, exec_lo, s1
	v_cmp_gt_u32_e64 s1, 60, v0
	v_lshlrev_b32_e32 v4, 2, v0
	global_wb scope:SCOPE_SE
	s_wait_dscnt 0x0
	s_barrier_signal -1
	s_barrier_wait -1
	global_inv scope:SCOPE_SE
                                        ; implicit-def: $vgpr45
	s_and_saveexec_b32 s2, s1
	s_cbranch_execz .LBB0_16
; %bb.15:
	v_add3_u32 v5, 0, v4, v51
	ds_load_2addr_b32 v[8:9], v5 offset0:60 offset1:120
	ds_load_2addr_b32 v[10:11], v5 offset0:180 offset1:240
	v_add_nc_u32_e32 v7, 0x400, v5
	s_wait_dscnt 0x1
	v_dual_mov_b32 v21, v9 :: v_dual_add_nc_u32 v16, 0x800, v5
	s_wait_dscnt 0x0
	v_mov_b32_e32 v22, v10
	ds_load_2addr_b32 v[12:13], v7 offset0:44 offset1:104
	s_wait_dscnt 0x0
	v_dual_mov_b32 v20, v12 :: v_dual_add_nc_u32 v5, 0xc00, v5
	ds_load_2addr_b32 v[14:15], v7 offset0:164 offset1:224
	ds_load_2addr_b32 v[61:62], v16 offset0:28 offset1:88
	;; [unrolled: 1-line block ×5, first 2 shown]
	v_add3_u32 v5, 0, v51, v4
	v_mov_b32_e32 v19, v11
	v_mov_b32_e32 v17, v13
	ds_load_b32 v7, v5
	s_wait_dscnt 0x4
	v_dual_mov_b32 v18, v14 :: v_dual_mov_b32 v13, v62
	s_wait_dscnt 0x3
	v_dual_mov_b32 v11, v64 :: v_dual_mov_b32 v14, v63
	;; [unrolled: 2-line block ×3, first 2 shown]
	s_wait_dscnt 0x1
	v_mov_b32_e32 v10, v44
	v_mov_b32_e32 v12, v65
.LBB0_16:
	s_wait_alu 0xfffe
	s_or_b32 exec_lo, exec_lo, s2
	v_sub_f32_e32 v6, v25, v6
	v_dual_sub_f32 v44, v29, v39 :: v_dual_sub_f32 v39, v27, v41
	v_sub_f32_e32 v30, v31, v43
	v_sub_f32_e32 v32, v33, v48
	;; [unrolled: 1-line block ×5, first 2 shown]
	v_fma_f32 v5, v25, 2.0, -v6
	v_fma_f32 v43, v29, 2.0, -v44
	;; [unrolled: 1-line block ×8, first 2 shown]
	global_wb scope:SCOPE_SE
	s_wait_dscnt 0x0
	s_barrier_signal -1
	s_barrier_wait -1
	global_inv scope:SCOPE_SE
	ds_store_b64 v59, v[5:6]
	ds_store_b64 v57, v[43:44]
	;; [unrolled: 1-line block ×7, first 2 shown]
	s_and_saveexec_b32 s2, s0
	s_cbranch_execz .LBB0_18
; %bb.17:
	v_add3_u32 v33, 0, v34, v51
	ds_store_b64 v33, v[23:24]
.LBB0_18:
	s_wait_alu 0xfffe
	s_or_b32 exec_lo, exec_lo, s2
	global_wb scope:SCOPE_SE
	s_wait_dscnt 0x0
	s_barrier_signal -1
	s_barrier_wait -1
	global_inv scope:SCOPE_SE
                                        ; implicit-def: $vgpr33
	s_and_saveexec_b32 s2, s1
	s_cbranch_execz .LBB0_20
; %bb.19:
	v_add3_u32 v5, 0, v4, v51
	ds_load_2addr_b32 v[23:24], v5 offset0:180 offset1:240
	v_add_nc_u32_e32 v6, 0x400, v5
	v_add_nc_u32_e32 v27, 0x800, v5
	ds_load_2addr_b32 v[34:35], v5 offset0:60 offset1:120
	v_add_nc_u32_e32 v5, 0xc00, v5
	s_wait_dscnt 0x1
	v_dual_mov_b32 v29, v24 :: v_dual_mov_b32 v44, v23
	ds_load_2addr_b32 v[25:26], v6 offset0:164 offset1:224
	ds_load_2addr_b32 v[36:37], v27 offset0:28 offset1:88
	;; [unrolled: 1-line block ×6, first 2 shown]
	v_add3_u32 v5, 0, v51, v4
	s_wait_dscnt 0x6
	v_dual_mov_b32 v43, v35 :: v_dual_mov_b32 v6, v34
	ds_load_b32 v5, v5
	s_wait_dscnt 0x6
	v_mov_b32_e32 v39, v25
	v_mov_b32_e32 v31, v26
	s_wait_dscnt 0x5
	v_mov_b32_e32 v27, v37
	s_wait_dscnt 0x4
	;; [unrolled: 2-line block ×3, first 2 shown]
	v_dual_mov_b32 v23, v58 :: v_dual_mov_b32 v24, v32
	v_mov_b32_e32 v26, v57
	v_mov_b32_e32 v28, v55
	;; [unrolled: 1-line block ×3, first 2 shown]
	s_wait_dscnt 0x1
	v_mov_b32_e32 v38, v60
	v_mov_b32_e32 v30, v59
.LBB0_20:
	s_wait_alu 0xfffe
	s_or_b32 exec_lo, exec_lo, s2
	v_and_b32_e32 v34, 1, v0
	s_delay_alu instid0(VALU_DEP_1)
	v_lshlrev_b32_e32 v35, 7, v34
	s_clause 0x7
	global_load_b128 v[68:71], v35, s[4:5]
	global_load_b128 v[72:75], v35, s[4:5] offset:16
	global_load_b128 v[76:79], v35, s[4:5] offset:32
	;; [unrolled: 1-line block ×7, first 2 shown]
	global_wb scope:SCOPE_SE
	s_wait_loadcnt_dscnt 0x0
	s_barrier_signal -1
	s_barrier_wait -1
	global_inv scope:SCOPE_SE
	v_mul_f32_e32 v46, v6, v69
	v_dual_mul_f32 v66, v21, v71 :: v_dual_mul_f32 v63, v20, v77
	v_mul_f32_e32 v52, v29, v75
	v_mul_f32_e32 v64, v19, v75
	;; [unrolled: 1-line block ×3, first 2 shown]
	v_dual_mul_f32 v60, v18, v81 :: v_dual_mul_f32 v81, v27, v87
	v_mul_f32_e32 v58, v10, v97
	v_dual_mul_f32 v48, v43, v71 :: v_dual_mul_f32 v65, v22, v73
	v_dual_mul_f32 v50, v44, v73 :: v_dual_mul_f32 v73, v38, v79
	;; [unrolled: 1-line block ×3, first 2 shown]
	v_mul_f32_e32 v77, v31, v83
	v_dual_mul_f32 v37, v15, v83 :: v_dual_mul_f32 v56, v12, v93
	v_mul_f32_e32 v79, v32, v85
	v_dual_mul_f32 v35, v16, v85 :: v_dual_mul_f32 v36, v13, v87
	v_dual_mul_f32 v83, v28, v89 :: v_dual_fmac_f32 v66, v43, v70
	v_dual_mul_f32 v41, v14, v89 :: v_dual_fmac_f32 v64, v29, v74
	;; [unrolled: 1-line block ×5, first 2 shown]
	v_mul_f32_e32 v57, v9, v95
	v_fma_f32 v43, v20, v76, -v62
	v_fma_f32 v29, v17, v78, -v73
	;; [unrolled: 1-line block ×3, first 2 shown]
	v_sub_f32_e32 v16, v66, v58
	v_fma_f32 v27, v14, v88, -v83
	v_mul_f32_e32 v67, v8, v69
	v_dual_mul_f32 v85, v25, v91 :: v_dual_fmac_f32 v60, v39, v80
	v_fma_f32 v69, v21, v70, -v48
	s_delay_alu instid0(VALU_DEP_4)
	v_dual_fmac_f32 v63, v30, v76 :: v_dual_add_f32 v14, v29, v27
	v_fma_f32 v21, v18, v80, -v75
	v_dual_fmac_f32 v55, v25, v90 :: v_dual_mul_f32 v80, 0xbf4c4adb, v16
	v_fmac_f32_e32 v65, v44, v72
	v_fma_f32 v44, v19, v74, -v52
	v_fma_f32 v19, v15, v82, -v77
	v_mul_f32_e32 v93, v33, v99
	v_fma_f32 v71, v8, v68, -v46
	v_fmac_f32_e32 v41, v28, v88
	v_fmac_f32_e32 v37, v31, v82
	v_fma_f32 v25, v12, v92, -v87
	v_add_f32_e32 v12, v19, v20
	v_fma_f32 v31, v45, v98, -v93
	v_mul_f32_e32 v91, v24, v97
	v_fmac_f32_e32 v67, v6, v68
	v_dual_mul_f32 v59, v45, v99 :: v_dual_mul_f32 v76, 0xbf7ee86f, v16
	s_delay_alu instid0(VALU_DEP_4) | instskip(NEXT) | instid1(VALU_DEP_4)
	v_add_f32_e32 v6, v71, v31
	v_fma_f32 v30, v10, v96, -v91
	v_fmac_f32_e32 v57, v23, v94
	v_sub_f32_e32 v23, v64, v56
	v_fma_f32 v68, v22, v72, -v50
	v_fma_f32 v22, v13, v86, -v81
	v_dual_add_f32 v8, v69, v30 :: v_dual_fmac_f32 v35, v32, v84
	v_sub_f32_e32 v32, v63, v55
	v_mul_f32_e32 v62, 0xbe3c28d5, v23
	s_delay_alu instid0(VALU_DEP_4) | instskip(NEXT) | instid1(VALU_DEP_4)
	v_add_f32_e32 v10, v21, v22
	v_dual_sub_f32 v17, v65, v57 :: v_dual_fmamk_f32 v48, v8, 0x3dbcf732, v76
	v_fmac_f32_e32 v59, v33, v98
	v_dual_fmac_f32 v61, v38, v78 :: v_dual_sub_f32 v24, v37, v35
	s_delay_alu instid0(VALU_DEP_3) | instskip(SKIP_1) | instid1(VALU_DEP_4)
	v_mul_f32_e32 v74, 0xbf4c4adb, v17
	v_fma_f32 v26, v9, v94, -v89
	v_dual_sub_f32 v15, v67, v59 :: v_dual_mul_f32 v46, 0x3f06c442, v32
	v_fma_f32 v28, v11, v90, -v85
	v_fmamk_f32 v50, v8, 0xbf1a4643, v80
	s_delay_alu instid0(VALU_DEP_3) | instskip(NEXT) | instid1(VALU_DEP_3)
	v_dual_mul_f32 v78, 0xbf2c7751, v15 :: v_dual_add_f32 v9, v68, v26
	v_dual_add_f32 v13, v43, v28 :: v_dual_sub_f32 v38, v61, v41
	s_delay_alu instid0(VALU_DEP_2) | instskip(NEXT) | instid1(VALU_DEP_3)
	v_dual_fmamk_f32 v18, v6, 0x3f3d2fb0, v78 :: v_dual_add_f32 v11, v44, v25
	v_dual_sub_f32 v33, v60, v36 :: v_dual_fmamk_f32 v52, v9, 0xbf1a4643, v74
	s_delay_alu instid0(VALU_DEP_3) | instskip(NEXT) | instid1(VALU_DEP_3)
	v_mul_f32_e32 v70, 0xbeb8f4ab, v38
	v_dual_add_f32 v18, v7, v18 :: v_dual_mul_f32 v81, 0xbf65296c, v15
	s_delay_alu instid0(VALU_DEP_2) | instskip(NEXT) | instid1(VALU_DEP_2)
	v_fmamk_f32 v84, v14, 0x3f6eb680, v70
	v_dual_add_f32 v18, v48, v18 :: v_dual_mul_f32 v79, 0x3e3c28d5, v17
	v_mul_f32_e32 v48, 0x3f65296c, v33
	s_delay_alu instid0(VALU_DEP_2) | instskip(SKIP_2) | instid1(VALU_DEP_1)
	v_add_f32_e32 v18, v52, v18
	v_fmamk_f32 v52, v13, 0xbf59a7d5, v46
	v_fmamk_f32 v39, v6, 0x3ee437d1, v81
	v_dual_fmamk_f32 v72, v9, 0xbf7ba420, v79 :: v_dual_add_f32 v39, v7, v39
	s_delay_alu instid0(VALU_DEP_1) | instskip(NEXT) | instid1(VALU_DEP_1)
	v_dual_add_f32 v39, v50, v39 :: v_dual_fmamk_f32 v50, v11, 0xbf7ba420, v62
	v_add_f32_e32 v39, v72, v39
	s_delay_alu instid0(VALU_DEP_2) | instskip(SKIP_1) | instid1(VALU_DEP_2)
	v_dual_mul_f32 v77, 0x3f763a35, v23 :: v_dual_add_f32 v18, v50, v18
	v_mul_f32_e32 v72, 0xbf7ee86f, v33
	v_fmamk_f32 v73, v11, 0xbe8c1d8e, v77
	s_delay_alu instid0(VALU_DEP_3) | instskip(SKIP_1) | instid1(VALU_DEP_3)
	v_dual_mul_f32 v75, 0x3f2c7751, v32 :: v_dual_add_f32 v18, v52, v18
	v_fmamk_f32 v52, v10, 0x3ee437d1, v48
	v_add_f32_e32 v50, v73, v39
	s_delay_alu instid0(VALU_DEP_3) | instskip(NEXT) | instid1(VALU_DEP_1)
	v_fmamk_f32 v82, v13, 0x3f3d2fb0, v75
	v_dual_add_f32 v50, v82, v50 :: v_dual_mul_f32 v73, 0xbf06c442, v24
	v_fmamk_f32 v82, v10, 0x3dbcf732, v72
	s_delay_alu instid0(VALU_DEP_2) | instskip(NEXT) | instid1(VALU_DEP_3)
	v_add_f32_e32 v50, v84, v50
	v_fmamk_f32 v84, v12, 0xbf59a7d5, v73
	v_mul_f32_e32 v45, 0x3f763a35, v38
	s_delay_alu instid0(VALU_DEP_1) | instskip(NEXT) | instid1(VALU_DEP_1)
	v_fmamk_f32 v83, v14, 0xbe8c1d8e, v45
	v_dual_mul_f32 v39, 0x3eb8f4ab, v24 :: v_dual_add_f32 v18, v83, v18
	s_delay_alu instid0(VALU_DEP_1) | instskip(NEXT) | instid1(VALU_DEP_2)
	v_fmamk_f32 v83, v12, 0x3f6eb680, v39
	v_add_f32_e32 v18, v52, v18
	v_add_f32_e32 v52, v82, v50
	s_delay_alu instid0(VALU_DEP_2) | instskip(NEXT) | instid1(VALU_DEP_2)
	v_add_f32_e32 v50, v83, v18
	v_add_f32_e32 v52, v84, v52
	v_lshrrev_b32_e32 v18, 1, v0
	s_and_saveexec_b32 s2, s1
	s_cbranch_execz .LBB0_22
; %bb.21:
	v_mul_f32_e32 v82, 0xbe3c28d5, v15
	v_mul_f32_e32 v94, 0x3f2c7751, v23
	v_mul_f32_e32 v99, 0x3f65296c, v38
	v_mul_f32_e32 v83, 0x3f3d2fb0, v6
	v_mul_f32_e32 v104, 0xbf7ee86f, v17
	v_dual_fmamk_f32 v87, v6, 0xbf7ba420, v82 :: v_dual_mul_f32 v92, 0xbf7ba420, v9
	v_mul_f32_e32 v84, 0x3ee437d1, v6
	v_fma_f32 v82, 0xbf7ba420, v6, -v82
	v_mul_f32_e32 v85, 0x3dbcf732, v8
	s_delay_alu instid0(VALU_DEP_4) | instskip(SKIP_1) | instid1(VALU_DEP_4)
	v_dual_add_f32 v87, v7, v87 :: v_dual_mul_f32 v86, 0x3eb8f4ab, v16
	v_fmamk_f32 v98, v11, 0x3f3d2fb0, v94
	v_dual_add_f32 v82, v7, v82 :: v_dual_fmamk_f32 v101, v14, 0x3ee437d1, v99
	v_mul_f32_e32 v97, 0xbf4c4adb, v32
	s_delay_alu instid0(VALU_DEP_4)
	v_fmamk_f32 v91, v8, 0x3f6eb680, v86
	v_mul_f32_e32 v106, 0xbf06c442, v23
	v_mul_f32_e32 v108, 0x3f2c7751, v17
	v_sub_f32_e32 v78, v83, v78
	v_dual_mul_f32 v88, 0xbf1a4643, v8 :: v_dual_mul_f32 v89, 0xbf1a4643, v9
	v_dual_add_f32 v87, v91, v87 :: v_dual_mul_f32 v90, 0xbf06c442, v17
	v_fma_f32 v86, 0x3f6eb680, v8, -v86
	v_mul_f32_e32 v96, 0xbf59a7d5, v13
	v_add_f32_e32 v78, v7, v78
	v_sub_f32_e32 v76, v85, v76
	s_delay_alu instid0(VALU_DEP_4) | instskip(SKIP_2) | instid1(VALU_DEP_3)
	v_dual_fmamk_f32 v95, v9, 0xbf59a7d5, v90 :: v_dual_add_f32 v82, v86, v82
	v_sub_f32_e32 v74, v89, v74
	v_sub_f32_e32 v80, v88, v80
	v_dual_add_f32 v76, v76, v78 :: v_dual_add_f32 v87, v95, v87
	v_fmamk_f32 v100, v13, 0xbf1a4643, v97
	v_fma_f32 v90, 0xbf59a7d5, v9, -v90
	s_delay_alu instid0(VALU_DEP_3) | instskip(NEXT) | instid1(VALU_DEP_4)
	v_dual_mul_f32 v93, 0xbf7ba420, v11 :: v_dual_add_f32 v74, v74, v76
	v_dual_add_f32 v87, v98, v87 :: v_dual_mul_f32 v98, 0xbf763a35, v33
	s_delay_alu instid0(VALU_DEP_3) | instskip(SKIP_1) | instid1(VALU_DEP_3)
	v_add_f32_e32 v82, v90, v82
	v_fma_f32 v90, 0x3f3d2fb0, v11, -v94
	v_dual_mul_f32 v94, 0x3f7ee86f, v24 :: v_dual_add_f32 v87, v100, v87
	s_delay_alu instid0(VALU_DEP_4) | instskip(SKIP_1) | instid1(VALU_DEP_4)
	v_dual_mul_f32 v91, 0xbe8c1d8e, v11 :: v_dual_fmamk_f32 v102, v10, 0xbe8c1d8e, v98
	v_mul_f32_e32 v100, 0xbf06c442, v15
	v_add_f32_e32 v82, v90, v82
	s_delay_alu instid0(VALU_DEP_4) | instskip(SKIP_2) | instid1(VALU_DEP_3)
	v_dual_add_f32 v86, v101, v87 :: v_dual_mul_f32 v95, 0x3f3d2fb0, v13
	v_mul_f32_e32 v101, 0x3f65296c, v16
	v_fma_f32 v90, 0xbf1a4643, v13, -v97
	v_dual_fmamk_f32 v97, v12, 0x3dbcf732, v94 :: v_dual_add_f32 v86, v102, v86
	v_fmamk_f32 v103, v6, 0xbf59a7d5, v100
	v_fma_f32 v98, 0xbe8c1d8e, v10, -v98
	s_delay_alu instid0(VALU_DEP_4)
	v_add_f32_e32 v82, v90, v82
	v_sub_f32_e32 v62, v93, v62
	v_add_f32_e32 v86, v97, v86
	v_dual_add_f32 v102, v7, v103 :: v_dual_fmamk_f32 v103, v8, 0x3ee437d1, v101
	v_fma_f32 v90, 0x3ee437d1, v14, -v99
	v_fma_f32 v101, 0x3ee437d1, v8, -v101
	v_add_f32_e32 v62, v62, v74
	v_sub_f32_e32 v46, v96, v46
	v_dual_add_f32 v102, v103, v102 :: v_dual_fmamk_f32 v103, v9, 0x3dbcf732, v104
	v_dual_add_f32 v82, v90, v82 :: v_dual_mul_f32 v105, 0x3f4c4adb, v23
	v_dual_mul_f32 v110, 0x3f763a35, v17 :: v_dual_sub_f32 v75, v95, v75
	s_delay_alu instid0(VALU_DEP_3) | instskip(NEXT) | instid1(VALU_DEP_3)
	v_dual_add_f32 v97, v103, v102 :: v_dual_mul_f32 v102, 0xbeb8f4ab, v32
	v_dual_add_f32 v82, v98, v82 :: v_dual_fmamk_f32 v99, v11, 0xbf1a4643, v105
	v_add_f32_e32 v46, v46, v62
	v_dual_add_f32 v76, v7, v71 :: v_dual_sub_f32 v81, v84, v81
	v_sub_f32_e32 v79, v92, v79
	s_delay_alu instid0(VALU_DEP_4) | instskip(NEXT) | instid1(VALU_DEP_3)
	v_add_f32_e32 v97, v99, v97
	v_dual_fmamk_f32 v99, v13, 0x3f6eb680, v102 :: v_dual_add_f32 v76, v76, v69
	s_delay_alu instid0(VALU_DEP_4) | instskip(SKIP_2) | instid1(VALU_DEP_4)
	v_add_f32_e32 v81, v7, v81
	v_mul_f32_e32 v111, 0x3eb8f4ab, v23
	v_sub_f32_e32 v77, v91, v77
	v_add_f32_e32 v97, v99, v97
	v_fma_f32 v90, 0xbf59a7d5, v6, -v100
	v_mul_f32_e32 v100, 0xbe3c28d5, v38
	v_add_f32_e32 v80, v80, v81
	v_add_f32_e32 v74, v76, v68
	s_delay_alu instid0(VALU_DEP_4) | instskip(NEXT) | instid1(VALU_DEP_3)
	v_dual_mul_f32 v83, 0x3f2c7751, v24 :: v_dual_add_f32 v90, v7, v90
	v_dual_fmamk_f32 v98, v14, 0xbf7ba420, v100 :: v_dual_add_f32 v79, v79, v80
	s_delay_alu instid0(VALU_DEP_2) | instskip(SKIP_2) | instid1(VALU_DEP_4)
	v_add_f32_e32 v90, v101, v90
	v_fma_f32 v101, 0x3dbcf732, v9, -v104
	v_mul_f32_e32 v99, 0x3f2c7751, v33
	v_add_f32_e32 v97, v98, v97
	v_fma_f32 v94, 0x3dbcf732, v12, -v94
	v_add_f32_e32 v77, v77, v79
	v_add_f32_e32 v90, v101, v90
	v_fmamk_f32 v98, v10, 0x3f3d2fb0, v99
	v_fma_f32 v101, 0xbf1a4643, v11, -v105
	v_mul_f32_e32 v103, 0xbf4c4adb, v15
	v_mul_f32_e32 v87, 0xbe8c1d8e, v14
	v_add_f32_e32 v82, v94, v82
	v_add_f32_e32 v94, v98, v97
	v_mul_f32_e32 v98, 0x3f763a35, v16
	v_dual_add_f32 v90, v101, v90 :: v_dual_fmamk_f32 v97, v6, 0xbf1a4643, v103
	v_fma_f32 v99, 0x3f3d2fb0, v10, -v99
	s_delay_alu instid0(VALU_DEP_3) | instskip(SKIP_1) | instid1(VALU_DEP_4)
	v_dual_add_f32 v75, v75, v77 :: v_dual_fmamk_f32 v104, v8, 0xbe8c1d8e, v98
	v_sub_f32_e32 v45, v87, v45
	v_add_f32_e32 v97, v7, v97
	v_fma_f32 v101, 0x3f6eb680, v13, -v102
	s_delay_alu instid0(VALU_DEP_3) | instskip(NEXT) | instid1(VALU_DEP_2)
	v_dual_mul_f32 v102, 0xbf763a35, v24 :: v_dual_add_f32 v45, v45, v46
	v_dual_add_f32 v97, v104, v97 :: v_dual_add_f32 v90, v101, v90
	v_fma_f32 v100, 0xbf7ba420, v14, -v100
	v_mul_f32_e32 v105, 0xbeb8f4ab, v17
	s_delay_alu instid0(VALU_DEP_2) | instskip(SKIP_1) | instid1(VALU_DEP_3)
	v_dual_mul_f32 v17, 0xbf65296c, v17 :: v_dual_add_f32 v90, v100, v90
	v_fmamk_f32 v101, v12, 0xbe8c1d8e, v102
	v_fmamk_f32 v104, v9, 0x3f6eb680, v105
	v_fmamk_f32 v100, v11, 0xbf59a7d5, v106
	s_delay_alu instid0(VALU_DEP_4) | instskip(NEXT) | instid1(VALU_DEP_4)
	v_add_f32_e32 v90, v99, v90
	v_dual_add_f32 v94, v101, v94 :: v_dual_mul_f32 v101, 0x3f7ee86f, v32
	s_delay_alu instid0(VALU_DEP_4) | instskip(SKIP_3) | instid1(VALU_DEP_4)
	v_add_f32_e32 v97, v104, v97
	v_fma_f32 v99, 0xbe8c1d8e, v12, -v102
	v_fma_f32 v102, 0xbf1a4643, v6, -v103
	v_mul_f32_e32 v104, 0xbe3c28d5, v33
	v_dual_add_f32 v97, v100, v97 :: v_dual_fmamk_f32 v100, v13, 0x3dbcf732, v101
	s_delay_alu instid0(VALU_DEP_4) | instskip(NEXT) | instid1(VALU_DEP_4)
	v_add_f32_e32 v90, v99, v90
	v_dual_add_f32 v99, v7, v102 :: v_dual_mul_f32 v102, 0xbf763a35, v15
	s_delay_alu instid0(VALU_DEP_3) | instskip(SKIP_1) | instid1(VALU_DEP_1)
	v_add_f32_e32 v97, v100, v97
	v_fma_f32 v98, 0xbe8c1d8e, v8, -v98
	v_dual_mul_f32 v103, 0xbf2c7751, v38 :: v_dual_add_f32 v98, v98, v99
	s_delay_alu instid0(VALU_DEP_1) | instskip(SKIP_3) | instid1(VALU_DEP_3)
	v_fmamk_f32 v100, v14, 0x3f3d2fb0, v103
	v_fma_f32 v99, 0x3f6eb680, v9, -v105
	v_fmamk_f32 v107, v10, 0xbf7ba420, v104
	v_mul_f32_e32 v105, 0x3f06c442, v16
	v_dual_add_f32 v97, v100, v97 :: v_dual_add_f32 v98, v99, v98
	s_delay_alu instid0(VALU_DEP_1) | instskip(SKIP_1) | instid1(VALU_DEP_1)
	v_dual_fmamk_f32 v100, v6, 0xbe8c1d8e, v102 :: v_dual_add_f32 v97, v107, v97
	v_mul_f32_e32 v107, 0x3f65296c, v24
	v_dual_add_f32 v100, v7, v100 :: v_dual_fmamk_f32 v109, v12, 0x3ee437d1, v107
	s_delay_alu instid0(VALU_DEP_1) | instskip(SKIP_4) | instid1(VALU_DEP_4)
	v_add_f32_e32 v97, v109, v97
	v_fma_f32 v99, 0xbf59a7d5, v11, -v106
	v_fmamk_f32 v106, v8, 0xbf59a7d5, v105
	v_mul_f32_e32 v109, 0xbf7ee86f, v15
	v_fma_f32 v105, 0xbf59a7d5, v8, -v105
	v_dual_mul_f32 v15, 0xbeb8f4ab, v15 :: v_dual_add_f32 v98, v99, v98
	v_fma_f32 v99, 0x3dbcf732, v13, -v101
	v_dual_add_f32 v100, v106, v100 :: v_dual_fmamk_f32 v101, v9, 0x3f3d2fb0, v108
	v_mul_f32_e32 v106, 0xbf65296c, v23
	s_delay_alu instid0(VALU_DEP_3) | instskip(SKIP_1) | instid1(VALU_DEP_3)
	v_dual_mul_f32 v23, 0xbf7ee86f, v23 :: v_dual_add_f32 v98, v99, v98
	v_fma_f32 v99, 0x3f3d2fb0, v14, -v103
	v_dual_add_f32 v100, v101, v100 :: v_dual_fmamk_f32 v101, v11, 0x3ee437d1, v106
	v_mul_f32_e32 v103, 0xbe3c28d5, v32
	v_fma_f32 v107, 0x3ee437d1, v12, -v107
	s_delay_alu instid0(VALU_DEP_4)
	v_add_f32_e32 v98, v99, v98
	v_fma_f32 v99, 0xbf7ba420, v10, -v104
	v_add_f32_e32 v100, v101, v100
	v_fmamk_f32 v101, v13, 0xbf7ba420, v103
	v_mul_f32_e32 v104, 0x3f7ee86f, v38
	v_fma_f32 v103, 0xbf7ba420, v13, -v103
	s_delay_alu instid0(VALU_DEP_3) | instskip(SKIP_1) | instid1(VALU_DEP_4)
	v_dual_add_f32 v98, v99, v98 :: v_dual_add_f32 v99, v101, v100
	v_fma_f32 v102, 0xbe8c1d8e, v6, -v102
	v_fmamk_f32 v100, v14, 0x3dbcf732, v104
	v_mul_f32_e32 v101, 0xbeb8f4ab, v33
	v_fma_f32 v104, 0x3dbcf732, v14, -v104
	v_add_f32_e32 v98, v107, v98
	s_delay_alu instid0(VALU_DEP_4) | instskip(NEXT) | instid1(VALU_DEP_4)
	v_dual_add_f32 v102, v7, v102 :: v_dual_add_f32 v99, v100, v99
	v_fmamk_f32 v100, v10, 0x3f6eb680, v101
	v_mul_f32_e32 v107, 0xbe3c28d5, v16
	v_fma_f32 v101, 0x3f6eb680, v10, -v101
	s_delay_alu instid0(VALU_DEP_4) | instskip(NEXT) | instid1(VALU_DEP_4)
	v_add_f32_e32 v102, v105, v102
	v_dual_mul_f32 v16, 0xbf2c7751, v16 :: v_dual_add_f32 v99, v100, v99
	v_fma_f32 v105, 0x3f3d2fb0, v9, -v108
	v_fmamk_f32 v100, v6, 0x3dbcf732, v109
	v_fmamk_f32 v108, v8, 0xbf7ba420, v107
	v_fma_f32 v107, 0xbf7ba420, v8, -v107
	s_delay_alu instid0(VALU_DEP_4) | instskip(SKIP_3) | instid1(VALU_DEP_2)
	v_add_f32_e32 v102, v105, v102
	v_fma_f32 v105, 0x3ee437d1, v11, -v106
	v_mul_f32_e32 v106, 0xbf4c4adb, v24
	v_add_f32_e32 v100, v7, v100
	v_dual_add_f32 v102, v105, v102 :: v_dual_fmamk_f32 v105, v12, 0xbf1a4643, v106
	v_fma_f32 v106, 0xbf1a4643, v12, -v106
	s_delay_alu instid0(VALU_DEP_2) | instskip(SKIP_3) | instid1(VALU_DEP_4)
	v_dual_add_f32 v102, v103, v102 :: v_dual_add_f32 v99, v105, v99
	v_fmamk_f32 v105, v11, 0x3f6eb680, v111
	v_mul_f32_e32 v103, 0x3f6eb680, v14
	v_fma_f32 v111, 0x3f6eb680, v11, -v111
	v_add_f32_e32 v102, v104, v102
	v_fma_f32 v104, 0x3dbcf732, v6, -v109
	v_dual_mul_f32 v109, 0xbf06c442, v38 :: v_dual_add_f32 v100, v108, v100
	v_fmamk_f32 v108, v9, 0xbe8c1d8e, v110
	v_sub_f32_e32 v70, v103, v70
	s_delay_alu instid0(VALU_DEP_4) | instskip(SKIP_2) | instid1(VALU_DEP_4)
	v_add_f32_e32 v104, v7, v104
	v_fma_f32 v110, 0xbe8c1d8e, v9, -v110
	v_fma_f32 v85, 0xbf59a7d5, v14, -v109
	v_add_f32_e32 v70, v70, v75
	s_delay_alu instid0(VALU_DEP_4) | instskip(SKIP_1) | instid1(VALU_DEP_2)
	v_dual_add_f32 v104, v107, v104 :: v_dual_mul_f32 v107, 0x3f4c4adb, v33
	v_fma_f32 v75, 0x3f3d2fb0, v12, -v83
	v_fma_f32 v79, 0xbf1a4643, v10, -v107
	v_add_f32_e32 v100, v108, v100
	v_mul_f32_e32 v108, 0xbf65296c, v32
	s_delay_alu instid0(VALU_DEP_2) | instskip(NEXT) | instid1(VALU_DEP_2)
	v_add_f32_e32 v100, v105, v100
	v_fmamk_f32 v105, v13, 0x3ee437d1, v108
	s_delay_alu instid0(VALU_DEP_1) | instskip(NEXT) | instid1(VALU_DEP_1)
	v_dual_add_f32 v100, v105, v100 :: v_dual_mul_f32 v105, 0x3ee437d1, v10
	v_sub_f32_e32 v46, v105, v48
	s_delay_alu instid0(VALU_DEP_1) | instskip(SKIP_1) | instid1(VALU_DEP_1)
	v_add_f32_e32 v45, v46, v45
	v_dual_add_f32 v101, v101, v102 :: v_dual_fmamk_f32 v102, v14, 0xbf59a7d5, v109
	v_add_f32_e32 v101, v106, v101
	s_delay_alu instid0(VALU_DEP_2) | instskip(SKIP_1) | instid1(VALU_DEP_1)
	v_add_f32_e32 v100, v102, v100
	v_mul_f32_e32 v102, 0x3dbcf732, v10
	v_sub_f32_e32 v72, v102, v72
	s_delay_alu instid0(VALU_DEP_1) | instskip(SKIP_1) | instid1(VALU_DEP_1)
	v_add_f32_e32 v62, v72, v70
	v_add_f32_e32 v70, v74, v44
	;; [unrolled: 1-line block ×3, first 2 shown]
	v_fmamk_f32 v70, v6, 0x3f6eb680, v15
	v_fma_f32 v6, 0x3f6eb680, v6, -v15
	s_delay_alu instid0(VALU_DEP_2) | instskip(SKIP_1) | instid1(VALU_DEP_3)
	v_dual_add_f32 v46, v48, v29 :: v_dual_add_f32 v15, v7, v70
	v_fmamk_f32 v48, v8, 0x3f3d2fb0, v16
	v_add_f32_e32 v6, v7, v6
	v_fma_f32 v7, 0x3f3d2fb0, v8, -v16
	s_delay_alu instid0(VALU_DEP_4) | instskip(NEXT) | instid1(VALU_DEP_4)
	v_add_f32_e32 v46, v46, v21
	v_dual_add_f32 v8, v48, v15 :: v_dual_fmamk_f32 v15, v9, 0x3ee437d1, v17
	s_delay_alu instid0(VALU_DEP_3) | instskip(NEXT) | instid1(VALU_DEP_3)
	v_add_f32_e32 v6, v7, v6
	v_add_f32_e32 v16, v46, v19
	v_fma_f32 v7, 0x3ee437d1, v9, -v17
	s_delay_alu instid0(VALU_DEP_4) | instskip(SKIP_1) | instid1(VALU_DEP_4)
	v_add_f32_e32 v8, v15, v8
	v_fmamk_f32 v15, v11, 0x3dbcf732, v23
	v_dual_add_f32 v9, v16, v20 :: v_dual_fmamk_f32 v84, v10, 0xbf1a4643, v107
	v_mul_f32_e32 v16, 0xbf763a35, v32
	v_add_f32_e32 v104, v110, v104
	v_add_f32_e32 v6, v7, v6
	v_fma_f32 v7, 0x3dbcf732, v11, -v23
	v_add_f32_e32 v9, v9, v22
	v_dual_fmamk_f32 v11, v13, 0xbe8c1d8e, v16 :: v_dual_add_f32 v84, v84, v100
	v_dual_add_f32 v8, v15, v8 :: v_dual_mul_f32 v15, 0xbf4c4adb, v38
	v_mul_f32_e32 v110, 0x3f6eb680, v12
	s_delay_alu instid0(VALU_DEP_4) | instskip(NEXT) | instid1(VALU_DEP_3)
	v_dual_add_f32 v6, v7, v6 :: v_dual_add_f32 v7, v9, v27
	v_dual_add_f32 v8, v11, v8 :: v_dual_fmamk_f32 v11, v14, 0xbf1a4643, v15
	v_fma_f32 v9, 0xbe8c1d8e, v13, -v16
	v_fma_f32 v100, 0x3ee437d1, v13, -v108
	s_delay_alu instid0(VALU_DEP_4)
	v_add_f32_e32 v7, v7, v28
	v_dual_mul_f32 v106, 0xbf59a7d5, v12 :: v_dual_sub_f32 v13, v110, v39
	v_add_f32_e32 v8, v11, v8
	v_mul_u32_u24_e32 v11, 34, v18
	v_add_f32_e32 v6, v9, v6
	v_fma_f32 v9, 0xbf1a4643, v14, -v15
	v_mul_f32_e32 v14, 0xbf06c442, v33
	v_add_f32_e32 v7, v7, v25
	v_or_b32_e32 v11, v11, v34
	v_add_f32_e32 v88, v111, v104
	v_fmamk_f32 v80, v12, 0x3f3d2fb0, v83
	v_add_f32_e32 v6, v9, v6
	v_add_f32_e32 v7, v7, v26
	v_lshlrev_b32_e32 v11, 2, v11
	v_add_f32_e32 v81, v100, v88
	v_fma_f32 v9, 0xbf59a7d5, v10, -v14
	v_mul_f32_e32 v15, 0xbe3c28d5, v24
	v_dual_fmamk_f32 v10, v10, 0xbf59a7d5, v14 :: v_dual_add_f32 v7, v7, v30
	s_delay_alu instid0(VALU_DEP_4) | instskip(NEXT) | instid1(VALU_DEP_4)
	v_add_f32_e32 v78, v85, v81
	v_add_f32_e32 v6, v9, v6
	s_delay_alu instid0(VALU_DEP_4) | instskip(SKIP_1) | instid1(VALU_DEP_4)
	v_fma_f32 v9, 0xbf7ba420, v12, -v15
	v_sub_f32_e32 v72, v106, v73
	v_dual_add_f32 v8, v10, v8 :: v_dual_add_f32 v77, v79, v78
	v_fmamk_f32 v10, v12, 0xbf7ba420, v15
	s_delay_alu instid0(VALU_DEP_4)
	v_dual_add_f32 v6, v9, v6 :: v_dual_add_f32 v7, v7, v31
	v_add3_u32 v9, 0, v11, v51
	v_dual_add_f32 v62, v72, v62 :: v_dual_add_f32 v11, v13, v45
	v_dual_add_f32 v12, v75, v77 :: v_dual_add_f32 v13, v80, v84
	v_add_f32_e32 v8, v10, v8
	ds_store_2addr_b32 v9, v7, v6 offset1:2
	ds_store_2addr_b32 v9, v11, v62 offset0:4 offset1:6
	ds_store_2addr_b32 v9, v12, v101 offset0:8 offset1:10
	;; [unrolled: 1-line block ×7, first 2 shown]
	ds_store_b32 v9, v8 offset:128
.LBB0_22:
	s_wait_alu 0xfffe
	s_or_b32 exec_lo, exec_lo, s2
	v_add3_u32 v48, 0, v4, v51
	global_wb scope:SCOPE_SE
	s_wait_dscnt 0x0
	s_barrier_signal -1
	s_barrier_wait -1
	global_inv scope:SCOPE_SE
	v_add_nc_u32_e32 v6, 0x600, v48
	v_add_nc_u32_e32 v7, 0x800, v48
	;; [unrolled: 1-line block ×5, first 2 shown]
	v_add3_u32 v46, 0, v51, v4
	ds_load_2addr_b32 v[10:11], v6 offset0:126 offset1:194
	ds_load_2addr_b32 v[12:13], v48 offset0:68 offset1:136
	ds_load_2addr_b32 v[8:9], v7 offset0:134 offset1:202
	ds_load_2addr_b32 v[14:15], v14 offset0:76 offset1:144
	ds_load_2addr_b32 v[6:7], v16 offset0:14 offset1:82
	ds_load_2addr_b32 v[16:17], v17 offset0:84 offset1:152
	ds_load_b32 v70, v46
	ds_load_b32 v62, v48 offset:3672
	s_and_saveexec_b32 s2, s0
	s_cbranch_execz .LBB0_24
; %bb.23:
	ds_load_b32 v52, v48 offset:1904
	ds_load_b32 v50, v48 offset:3944
.LBB0_24:
	s_wait_alu 0xfffe
	s_or_b32 exec_lo, exec_lo, s2
	v_dual_sub_f32 v82, v71, v31 :: v_dual_sub_f32 v75, v69, v30
	v_add_f32_e32 v77, v67, v59
	v_add_f32_e32 v73, v66, v58
	v_dual_add_f32 v45, v65, v57 :: v_dual_sub_f32 v72, v68, v26
	s_delay_alu instid0(VALU_DEP_4) | instskip(SKIP_3) | instid1(VALU_DEP_4)
	v_mul_f32_e32 v80, 0xbf65296c, v82
	v_mul_f32_e32 v78, 0xbf7ee86f, v75
	v_dual_mul_f32 v79, 0xbf4c4adb, v75 :: v_dual_sub_f32 v20, v19, v20
	v_add_f32_e32 v19, v37, v35
	v_fma_f32 v24, 0x3ee437d1, v77, -v80
	v_mul_f32_e32 v81, 0xbf2c7751, v82
	v_fma_f32 v26, 0x3dbcf732, v73, -v78
	v_mul_f32_e32 v76, 0xbf4c4adb, v72
	v_fma_f32 v30, 0xbf1a4643, v73, -v79
	v_add_f32_e32 v24, v5, v24
	v_fma_f32 v23, 0x3f3d2fb0, v77, -v81
	v_sub_f32_e32 v39, v44, v25
	v_fma_f32 v25, 0xbf1a4643, v45, -v76
	v_mul_f32_e32 v74, 0x3e3c28d5, v72
	s_delay_alu instid0(VALU_DEP_4) | instskip(NEXT) | instid1(VALU_DEP_4)
	v_dual_add_f32 v24, v30, v24 :: v_dual_add_f32 v23, v5, v23
	v_dual_add_f32 v33, v64, v56 :: v_dual_mul_f32 v44, 0x3f763a35, v39
	v_sub_f32_e32 v32, v43, v28
	v_add_f32_e32 v30, v63, v55
	s_delay_alu instid0(VALU_DEP_4) | instskip(SKIP_3) | instid1(VALU_DEP_4)
	v_add_f32_e32 v23, v26, v23
	v_fma_f32 v26, 0xbf7ba420, v45, -v74
	v_mul_f32_e32 v71, 0xbe3c28d5, v39
	v_mul_f32_e32 v43, 0x3f06c442, v32
	v_dual_mul_f32 v38, 0x3f2c7751, v32 :: v_dual_add_f32 v23, v25, v23
	s_delay_alu instid0(VALU_DEP_4) | instskip(NEXT) | instid1(VALU_DEP_4)
	v_add_f32_e32 v24, v26, v24
	v_fma_f32 v25, 0xbf7ba420, v33, -v71
	v_fma_f32 v26, 0xbe8c1d8e, v33, -v44
	global_wb scope:SCOPE_SE
	s_wait_dscnt 0x0
	s_barrier_signal -1
	s_barrier_wait -1
	v_dual_add_f32 v23, v25, v23 :: v_dual_add_f32 v26, v26, v24
	v_sub_f32_e32 v28, v29, v27
	v_fma_f32 v24, 0xbf59a7d5, v30, -v43
	v_fma_f32 v27, 0x3f3d2fb0, v30, -v38
	v_add_f32_e32 v25, v61, v41
	global_inv scope:SCOPE_SE
	v_dual_add_f32 v23, v24, v23 :: v_dual_sub_f32 v24, v21, v22
	v_add_f32_e32 v21, v27, v26
	v_mul_f32_e32 v31, 0x3f763a35, v28
	v_mul_f32_e32 v29, 0xbeb8f4ab, v28
	v_add_f32_e32 v22, v60, v36
	v_mul_f32_e32 v27, 0x3f65296c, v24
	s_delay_alu instid0(VALU_DEP_4) | instskip(NEXT) | instid1(VALU_DEP_4)
	v_fma_f32 v68, 0xbe8c1d8e, v25, -v31
	v_fma_f32 v69, 0x3f6eb680, v25, -v29
	v_mul_f32_e32 v26, 0xbf7ee86f, v24
	s_delay_alu instid0(VALU_DEP_4) | instskip(NEXT) | instid1(VALU_DEP_3)
	v_fma_f32 v83, 0x3ee437d1, v22, -v27
	v_dual_add_f32 v68, v68, v23 :: v_dual_add_f32 v69, v69, v21
	s_delay_alu instid0(VALU_DEP_3) | instskip(SKIP_2) | instid1(VALU_DEP_3)
	v_fma_f32 v84, 0x3dbcf732, v22, -v26
	v_mul_f32_e32 v21, 0x3eb8f4ab, v20
	v_mul_f32_e32 v23, 0xbf06c442, v20
	v_dual_add_f32 v68, v83, v68 :: v_dual_add_f32 v83, v84, v69
	s_delay_alu instid0(VALU_DEP_3) | instskip(NEXT) | instid1(VALU_DEP_3)
	v_fma_f32 v69, 0x3f6eb680, v19, -v21
	v_fma_f32 v84, 0xbf59a7d5, v19, -v23
	s_delay_alu instid0(VALU_DEP_1)
	v_dual_add_f32 v69, v69, v68 :: v_dual_add_f32 v68, v84, v83
	s_and_saveexec_b32 s2, s1
	s_cbranch_execz .LBB0_26
; %bb.25:
	v_dual_add_f32 v67, v5, v67 :: v_dual_mul_f32 v84, 0x3ee437d1, v77
	v_mul_f32_e32 v83, 0x3f3d2fb0, v77
	v_mul_f32_e32 v87, 0xbf7ba420, v45
	v_mul_u32_u24_e32 v18, 34, v18
	s_delay_alu instid0(VALU_DEP_4) | instskip(NEXT) | instid1(VALU_DEP_4)
	v_add_f32_e32 v66, v67, v66
	v_dual_mul_f32 v88, 0xbf7ba420, v33 :: v_dual_add_f32 v81, v81, v83
	v_mul_f32_e32 v97, 0xbf763a35, v82
	s_delay_alu instid0(VALU_DEP_4) | instskip(NEXT) | instid1(VALU_DEP_4)
	v_or_b32_e32 v18, v18, v34
	v_dual_add_f32 v65, v66, v65 :: v_dual_mul_f32 v66, 0xbf59a7d5, v30
	v_mul_f32_e32 v85, 0x3dbcf732, v73
	v_mul_f32_e32 v34, 0xbf763a35, v20
	s_delay_alu instid0(VALU_DEP_4) | instskip(NEXT) | instid1(VALU_DEP_4)
	v_lshlrev_b32_e32 v18, 2, v18
	v_add_f32_e32 v64, v65, v64
	v_mul_f32_e32 v86, 0xbf1a4643, v73
	v_dual_mul_f32 v65, 0x3ee437d1, v22 :: v_dual_add_f32 v78, v78, v85
	s_delay_alu instid0(VALU_DEP_4) | instskip(NEXT) | instid1(VALU_DEP_4)
	v_add3_u32 v18, 0, v18, v51
	v_dual_add_f32 v63, v64, v63 :: v_dual_mul_f32 v90, 0x3f3d2fb0, v30
	s_delay_alu instid0(VALU_DEP_4) | instskip(NEXT) | instid1(VALU_DEP_2)
	v_dual_mul_f32 v100, 0xbe3c28d5, v75 :: v_dual_add_f32 v79, v79, v86
	v_add_f32_e32 v61, v63, v61
	s_delay_alu instid0(VALU_DEP_3) | instskip(NEXT) | instid1(VALU_DEP_2)
	v_dual_mul_f32 v67, 0xbf1a4643, v45 :: v_dual_add_f32 v38, v38, v90
	v_add_f32_e32 v60, v61, v60
	s_delay_alu instid0(VALU_DEP_1) | instskip(SKIP_2) | instid1(VALU_DEP_3)
	v_dual_mul_f32 v94, 0x3f6eb680, v19 :: v_dual_add_f32 v37, v60, v37
	v_mul_f32_e32 v64, 0xbeb8f4ab, v82
	v_dual_add_f32 v60, v80, v84 :: v_dual_mul_f32 v91, 0xbe8c1d8e, v25
	v_add_f32_e32 v21, v21, v94
	s_delay_alu instid0(VALU_DEP_4) | instskip(NEXT) | instid1(VALU_DEP_4)
	v_dual_add_f32 v35, v37, v35 :: v_dual_mul_f32 v96, 0xbf7ee86f, v82
	v_dual_mul_f32 v92, 0x3f6eb680, v25 :: v_dual_fmamk_f32 v101, v77, 0x3f6eb680, v64
	v_fma_f32 v64, 0x3f6eb680, v77, -v64
	s_delay_alu instid0(VALU_DEP_3) | instskip(NEXT) | instid1(VALU_DEP_4)
	v_add_f32_e32 v35, v35, v36
	v_dual_mul_f32 v93, 0x3dbcf732, v22 :: v_dual_fmamk_f32 v80, v77, 0x3dbcf732, v96
	v_mul_f32_e32 v98, 0xbf4c4adb, v82
	v_mul_f32_e32 v63, 0xbf06c442, v82
	s_delay_alu instid0(VALU_DEP_4) | instskip(SKIP_2) | instid1(VALU_DEP_3)
	v_dual_add_f32 v35, v35, v41 :: v_dual_mul_f32 v82, 0xbe3c28d5, v82
	v_add_f32_e32 v85, v5, v101
	v_fma_f32 v83, 0x3dbcf732, v77, -v96
	v_dual_fmamk_f32 v96, v77, 0xbf1a4643, v98 :: v_dual_add_f32 v35, v35, v55
	v_add_f32_e32 v55, v5, v64
	v_add_f32_e32 v64, v5, v81
	v_dual_mul_f32 v89, 0xbe8c1d8e, v33 :: v_dual_fmamk_f32 v84, v77, 0xbe8c1d8e, v97
	v_fma_f32 v37, 0xbe8c1d8e, v77, -v97
	v_fma_f32 v97, 0xbf1a4643, v77, -v98
	v_dual_add_f32 v80, v5, v80 :: v_dual_mul_f32 v95, 0xbf59a7d5, v19
	v_fmamk_f32 v98, v77, 0xbf59a7d5, v63
	v_mul_f32_e32 v99, 0xbf2c7751, v75
	v_fma_f32 v36, 0xbf59a7d5, v77, -v63
	v_fmamk_f32 v63, v77, 0xbf7ba420, v82
	v_fma_f32 v77, 0xbf7ba420, v77, -v82
	v_add_f32_e32 v35, v35, v56
	v_add_f32_e32 v81, v5, v84
	;; [unrolled: 1-line block ×3, first 2 shown]
	v_fmamk_f32 v82, v73, 0x3f3d2fb0, v99
	v_fma_f32 v41, 0x3f3d2fb0, v73, -v99
	v_dual_add_f32 v56, v5, v83 :: v_dual_add_f32 v35, v35, v57
	v_dual_mul_f32 v61, 0x3f06c442, v75 :: v_dual_add_f32 v36, v5, v36
	s_delay_alu instid0(VALU_DEP_3)
	v_add_f32_e32 v41, v41, v55
	v_add_f32_e32 v55, v78, v64
	v_fma_f32 v64, 0xbf7ba420, v73, -v100
	v_add_f32_e32 v60, v5, v60
	v_add_f32_e32 v37, v5, v37
	;; [unrolled: 1-line block ×3, first 2 shown]
	s_delay_alu instid0(VALU_DEP_4)
	v_dual_add_f32 v57, v5, v97 :: v_dual_add_f32 v56, v64, v56
	v_dual_add_f32 v35, v35, v58 :: v_dual_fmamk_f32 v78, v73, 0xbf59a7d5, v61
	v_dual_add_f32 v58, v82, v85 :: v_dual_add_f32 v63, v5, v63
	v_add_f32_e32 v5, v5, v77
	v_dual_mul_f32 v77, 0x3f763a35, v75 :: v_dual_add_f32 v60, v79, v60
	v_mul_f32_e32 v79, 0x3f65296c, v75
	v_fma_f32 v61, 0xbf59a7d5, v73, -v61
	v_add_f32_e32 v44, v44, v89
	s_delay_alu instid0(VALU_DEP_4) | instskip(SKIP_3) | instid1(VALU_DEP_4)
	v_fmamk_f32 v64, v73, 0xbe8c1d8e, v77
	v_fma_f32 v77, 0xbe8c1d8e, v73, -v77
	v_add_f32_e32 v29, v29, v92
	v_add_f32_e32 v37, v61, v37
	v_dual_add_f32 v26, v26, v93 :: v_dual_add_f32 v61, v64, v83
	s_delay_alu instid0(VALU_DEP_4) | instskip(SKIP_3) | instid1(VALU_DEP_3)
	v_add_f32_e32 v57, v77, v57
	v_fma_f32 v77, 0x3ee437d1, v73, -v79
	v_mul_f32_e32 v64, 0x3eb8f4ab, v75
	v_dual_add_f32 v35, v35, v59 :: v_dual_add_f32 v78, v78, v81
	v_dual_add_f32 v23, v23, v95 :: v_dual_add_f32 v36, v77, v36
	v_fmamk_f32 v59, v73, 0xbf7ba420, v100
	v_fmamk_f32 v75, v73, 0x3ee437d1, v79
	v_mul_f32_e32 v79, 0xbf65296c, v72
	s_delay_alu instid0(VALU_DEP_3) | instskip(SKIP_1) | instid1(VALU_DEP_3)
	v_dual_add_f32 v59, v59, v80 :: v_dual_fmamk_f32 v80, v73, 0x3f6eb680, v64
	v_fma_f32 v64, 0x3f6eb680, v73, -v64
	v_fmamk_f32 v73, v45, 0x3ee437d1, v79
	v_fma_f32 v77, 0x3ee437d1, v45, -v79
	s_delay_alu instid0(VALU_DEP_3) | instskip(SKIP_1) | instid1(VALU_DEP_4)
	v_add_f32_e32 v5, v64, v5
	v_dual_add_f32 v64, v76, v67 :: v_dual_mul_f32 v67, 0x3f763a35, v72
	v_dual_add_f32 v58, v73, v58 :: v_dual_add_f32 v73, v74, v87
	s_delay_alu instid0(VALU_DEP_2) | instskip(NEXT) | instid1(VALU_DEP_3)
	v_dual_add_f32 v55, v64, v55 :: v_dual_mul_f32 v64, 0x3f2c7751, v72
	v_dual_add_f32 v63, v80, v63 :: v_dual_fmamk_f32 v74, v45, 0xbe8c1d8e, v67
	v_fma_f32 v67, 0xbe8c1d8e, v45, -v67
	s_delay_alu instid0(VALU_DEP_4) | instskip(NEXT) | instid1(VALU_DEP_4)
	v_add_f32_e32 v60, v73, v60
	v_fmamk_f32 v76, v45, 0x3f3d2fb0, v64
	v_fma_f32 v64, 0x3f3d2fb0, v45, -v64
	v_mul_f32_e32 v73, 0xbeb8f4ab, v72
	v_dual_add_f32 v56, v67, v56 :: v_dual_add_f32 v59, v74, v59
	s_delay_alu instid0(VALU_DEP_4) | instskip(SKIP_4) | instid1(VALU_DEP_4)
	v_add_f32_e32 v74, v76, v78
	v_dual_mul_f32 v76, 0xbf7ee86f, v72 :: v_dual_add_f32 v41, v77, v41
	v_add_f32_e32 v44, v44, v60
	v_dual_mul_f32 v60, 0xbf06c442, v39 :: v_dual_add_f32 v37, v64, v37
	v_mul_f32_e32 v64, 0xbf06c442, v72
	v_fma_f32 v72, 0x3dbcf732, v45, -v76
	s_delay_alu instid0(VALU_DEP_4) | instskip(SKIP_1) | instid1(VALU_DEP_3)
	v_add_f32_e32 v38, v38, v44
	v_mul_f32_e32 v44, 0x3f7ee86f, v32
	v_dual_add_f32 v36, v72, v36 :: v_dual_fmamk_f32 v67, v45, 0x3f6eb680, v73
	v_fma_f32 v73, 0x3f6eb680, v45, -v73
	s_delay_alu instid0(VALU_DEP_4) | instskip(NEXT) | instid1(VALU_DEP_3)
	v_dual_add_f32 v29, v29, v38 :: v_dual_mul_f32 v38, 0xbf2c7751, v28
	v_add_f32_e32 v61, v67, v61
	v_fmamk_f32 v67, v45, 0x3dbcf732, v76
	s_delay_alu instid0(VALU_DEP_4) | instskip(SKIP_4) | instid1(VALU_DEP_4)
	v_add_f32_e32 v57, v73, v57
	v_mul_f32_e32 v73, 0xbf7ee86f, v39
	v_fmamk_f32 v76, v45, 0xbf59a7d5, v64
	v_fma_f32 v45, 0xbf59a7d5, v45, -v64
	v_dual_add_f32 v26, v26, v29 :: v_dual_mul_f32 v29, 0xbe3c28d5, v24
	v_fmamk_f32 v64, v33, 0x3dbcf732, v73
	v_fma_f32 v72, 0x3dbcf732, v33, -v73
	s_delay_alu instid0(VALU_DEP_4) | instskip(SKIP_4) | instid1(VALU_DEP_4)
	v_add_f32_e32 v5, v45, v5
	v_add_f32_e32 v45, v71, v88
	;; [unrolled: 1-line block ×3, first 2 shown]
	v_dual_add_f32 v58, v64, v58 :: v_dual_add_f32 v75, v75, v84
	v_mul_f32_e32 v64, 0x3eb8f4ab, v39
	v_add_f32_e32 v45, v45, v55
	v_mul_f32_e32 v55, 0xbf65296c, v39
	v_add_f32_e32 v41, v72, v41
	s_delay_alu instid0(VALU_DEP_4) | instskip(SKIP_1) | instid1(VALU_DEP_4)
	v_fmamk_f32 v71, v33, 0x3f6eb680, v64
	v_fma_f32 v64, 0x3f6eb680, v33, -v64
	v_fmamk_f32 v72, v33, 0x3ee437d1, v55
	v_fma_f32 v55, 0x3ee437d1, v33, -v55
	s_delay_alu instid0(VALU_DEP_3) | instskip(NEXT) | instid1(VALU_DEP_3)
	v_dual_add_f32 v56, v64, v56 :: v_dual_add_f32 v59, v71, v59
	v_dual_fmamk_f32 v64, v33, 0xbf59a7d5, v60 :: v_dual_add_f32 v71, v72, v74
	v_mul_f32_e32 v72, 0x3f4c4adb, v39
	v_fma_f32 v60, 0xbf59a7d5, v33, -v60
	v_mul_f32_e32 v39, 0x3f2c7751, v39
	v_add_f32_e32 v67, v67, v75
	v_add_f32_e32 v37, v55, v37
	;; [unrolled: 1-line block ×3, first 2 shown]
	v_fmamk_f32 v61, v33, 0xbf1a4643, v72
	v_dual_mul_f32 v64, 0xbf763a35, v32 :: v_dual_add_f32 v57, v60, v57
	v_fma_f32 v60, 0xbf1a4643, v33, -v72
	v_fmamk_f32 v72, v33, 0x3f3d2fb0, v39
	v_fma_f32 v33, 0x3f3d2fb0, v33, -v39
	s_delay_alu instid0(VALU_DEP_3) | instskip(NEXT) | instid1(VALU_DEP_2)
	v_dual_fmamk_f32 v39, v30, 0xbe8c1d8e, v64 :: v_dual_add_f32 v36, v60, v36
	v_add_f32_e32 v5, v33, v5
	v_add_f32_e32 v33, v43, v66
	v_mul_f32_e32 v43, 0xbf65296c, v32
	v_add_f32_e32 v63, v76, v63
	v_add_f32_e32 v39, v39, v58
	s_delay_alu instid0(VALU_DEP_4)
	v_add_f32_e32 v33, v33, v45
	v_mul_f32_e32 v45, 0xbe3c28d5, v32
	v_fmamk_f32 v58, v30, 0x3ee437d1, v43
	v_add_f32_e32 v60, v72, v63
	v_fma_f32 v63, 0xbe8c1d8e, v30, -v64
	v_fma_f32 v43, 0x3ee437d1, v30, -v43
	s_delay_alu instid0(VALU_DEP_1) | instskip(NEXT) | instid1(VALU_DEP_3)
	v_dual_add_f32 v58, v58, v59 :: v_dual_add_f32 v43, v43, v56
	v_dual_fmamk_f32 v56, v30, 0x3dbcf732, v44 :: v_dual_add_f32 v41, v63, v41
	v_fmamk_f32 v63, v30, 0xbf7ba420, v45
	v_fma_f32 v45, 0xbf7ba420, v30, -v45
	v_fma_f32 v44, 0x3dbcf732, v30, -v44
	s_delay_alu instid0(VALU_DEP_3) | instskip(SKIP_1) | instid1(VALU_DEP_4)
	v_add_f32_e32 v59, v63, v71
	v_mul_f32_e32 v63, 0xbeb8f4ab, v32
	v_add_f32_e32 v37, v45, v37
	v_dual_add_f32 v45, v56, v55 :: v_dual_mul_f32 v32, 0xbf4c4adb, v32
	v_add_f32_e32 v44, v44, v57
	s_delay_alu instid0(VALU_DEP_4)
	v_fma_f32 v56, 0x3f6eb680, v30, -v63
	v_mul_f32_e32 v57, 0xbf4c4adb, v28
	v_fmamk_f32 v55, v30, 0x3f6eb680, v63
	v_fmamk_f32 v63, v30, 0xbf1a4643, v32
	v_fma_f32 v30, 0xbf1a4643, v30, -v32
	v_add_f32_e32 v32, v56, v36
	v_fmamk_f32 v36, v25, 0xbf1a4643, v57
	v_fma_f32 v57, 0xbf1a4643, v25, -v57
	s_delay_alu instid0(VALU_DEP_4) | instskip(NEXT) | instid1(VALU_DEP_3)
	v_dual_add_f32 v5, v30, v5 :: v_dual_add_f32 v30, v31, v91
	v_dual_add_f32 v31, v36, v39 :: v_dual_mul_f32 v36, 0xbf06c442, v28
	s_delay_alu instid0(VALU_DEP_3) | instskip(NEXT) | instid1(VALU_DEP_3)
	v_add_f32_e32 v39, v57, v41
	v_dual_add_f32 v30, v30, v33 :: v_dual_mul_f32 v33, 0x3f7ee86f, v28
	s_delay_alu instid0(VALU_DEP_3) | instskip(SKIP_1) | instid1(VALU_DEP_3)
	v_fmamk_f32 v41, v25, 0xbf59a7d5, v36
	v_fma_f32 v36, 0xbf59a7d5, v25, -v36
	v_fmamk_f32 v57, v25, 0x3dbcf732, v33
	s_delay_alu instid0(VALU_DEP_2)
	v_dual_add_f32 v41, v41, v58 :: v_dual_add_f32 v36, v36, v43
	v_fma_f32 v33, 0x3dbcf732, v25, -v33
	v_fmamk_f32 v43, v25, 0x3f3d2fb0, v38
	v_mul_f32_e32 v58, 0xbe3c28d5, v28
	v_fma_f32 v38, 0x3f3d2fb0, v25, -v38
	v_dual_add_f32 v61, v61, v67 :: v_dual_mul_f32 v28, 0x3f65296c, v28
	v_add_f32_e32 v33, v33, v37
	s_delay_alu instid0(VALU_DEP_3)
	v_dual_add_f32 v37, v43, v45 :: v_dual_add_f32 v38, v38, v44
	v_fma_f32 v44, 0xbf7ba420, v25, -v58
	v_mul_f32_e32 v45, 0xbf06c442, v24
	v_fmamk_f32 v43, v25, 0xbf7ba420, v58
	v_fmamk_f32 v58, v25, 0x3ee437d1, v28
	v_fma_f32 v25, 0x3ee437d1, v25, -v28
	v_add_f32_e32 v28, v44, v32
	v_fmamk_f32 v32, v22, 0xbf59a7d5, v45
	v_fma_f32 v45, 0xbf59a7d5, v22, -v45
	s_delay_alu instid0(VALU_DEP_4) | instskip(SKIP_1) | instid1(VALU_DEP_4)
	v_add_f32_e32 v5, v25, v5
	v_add_f32_e32 v25, v27, v65
	;; [unrolled: 1-line block ×3, first 2 shown]
	s_delay_alu instid0(VALU_DEP_4) | instskip(NEXT) | instid1(VALU_DEP_3)
	v_dual_mul_f32 v31, 0x3f4c4adb, v24 :: v_dual_add_f32 v32, v45, v39
	v_dual_add_f32 v25, v25, v30 :: v_dual_mul_f32 v30, 0xbeb8f4ab, v24
	s_delay_alu instid0(VALU_DEP_2) | instskip(SKIP_1) | instid1(VALU_DEP_3)
	v_fmamk_f32 v39, v22, 0xbf1a4643, v31
	v_fma_f32 v31, 0xbf1a4643, v22, -v31
	v_add_f32_e32 v21, v21, v25
	s_delay_alu instid0(VALU_DEP_4) | instskip(NEXT) | instid1(VALU_DEP_4)
	v_fmamk_f32 v45, v22, 0x3f6eb680, v30
	v_add_f32_e32 v39, v39, v41
	s_delay_alu instid0(VALU_DEP_4) | instskip(SKIP_3) | instid1(VALU_DEP_3)
	v_dual_add_f32 v31, v31, v36 :: v_dual_fmamk_f32 v36, v22, 0xbf7ba420, v29
	v_add_f32_e32 v57, v57, v59
	v_fma_f32 v30, 0x3f6eb680, v22, -v30
	v_fma_f32 v29, 0xbf7ba420, v22, -v29
	v_add_f32_e32 v41, v45, v57
	s_delay_alu instid0(VALU_DEP_3) | instskip(SKIP_1) | instid1(VALU_DEP_4)
	v_dual_mul_f32 v45, 0x3f2c7751, v24 :: v_dual_add_f32 v30, v30, v33
	v_dual_add_f32 v33, v36, v37 :: v_dual_mul_f32 v24, 0xbf763a35, v24
	v_add_f32_e32 v29, v29, v38
	s_delay_alu instid0(VALU_DEP_3)
	v_fma_f32 v37, 0x3f3d2fb0, v22, -v45
	v_fmamk_f32 v36, v22, 0x3f3d2fb0, v45
	v_mul_f32_e32 v38, 0xbe3c28d5, v20
	v_fmamk_f32 v45, v22, 0xbe8c1d8e, v24
	v_fma_f32 v22, 0xbe8c1d8e, v22, -v24
	v_dual_add_f32 v28, v37, v28 :: v_dual_add_f32 v55, v55, v61
	s_delay_alu instid0(VALU_DEP_2) | instskip(SKIP_1) | instid1(VALU_DEP_1)
	v_add_f32_e32 v5, v22, v5
	v_fma_f32 v22, 0xbf7ba420, v19, -v38
	v_dual_add_f32 v43, v43, v55 :: v_dual_add_f32 v22, v22, v32
	s_delay_alu instid0(VALU_DEP_1) | instskip(SKIP_1) | instid1(VALU_DEP_1)
	v_add_f32_e32 v24, v36, v43
	v_fmamk_f32 v36, v19, 0xbf7ba420, v38
	v_dual_mul_f32 v38, 0x3f2c7751, v20 :: v_dual_add_f32 v27, v36, v27
	s_delay_alu instid0(VALU_DEP_1)
	v_fmamk_f32 v32, v19, 0x3f3d2fb0, v38
	v_mul_f32_e32 v36, 0xbf4c4adb, v20
	v_fma_f32 v25, 0x3f3d2fb0, v19, -v38
	v_mul_f32_e32 v38, 0x3f65296c, v20
	v_mul_f32_e32 v20, 0x3f7ee86f, v20
	v_add_f32_e32 v26, v32, v39
	v_fmamk_f32 v32, v19, 0xbf1a4643, v36
	v_fma_f32 v36, 0xbf1a4643, v19, -v36
	v_add_f32_e32 v25, v25, v31
	s_delay_alu instid0(VALU_DEP_3) | instskip(NEXT) | instid1(VALU_DEP_3)
	v_add_f32_e32 v31, v32, v41
	v_add_f32_e32 v30, v36, v30
	;; [unrolled: 1-line block ×3, first 2 shown]
	v_fmamk_f32 v32, v19, 0x3ee437d1, v38
	v_fma_f32 v36, 0x3ee437d1, v19, -v38
	s_delay_alu instid0(VALU_DEP_3) | instskip(NEXT) | instid1(VALU_DEP_3)
	v_add_f32_e32 v44, v58, v56
	v_dual_add_f32 v32, v32, v33 :: v_dual_fmamk_f32 v33, v19, 0xbe8c1d8e, v34
	s_delay_alu instid0(VALU_DEP_3) | instskip(SKIP_1) | instid1(VALU_DEP_4)
	v_add_f32_e32 v29, v36, v29
	v_fma_f32 v34, 0xbe8c1d8e, v19, -v34
	v_dual_add_f32 v37, v45, v44 :: v_dual_fmamk_f32 v36, v19, 0x3dbcf732, v20
	v_fma_f32 v19, 0x3dbcf732, v19, -v20
	v_add_f32_e32 v20, v33, v24
	s_delay_alu instid0(VALU_DEP_4) | instskip(NEXT) | instid1(VALU_DEP_4)
	v_add_f32_e32 v24, v34, v28
	v_add_f32_e32 v28, v36, v37
	s_delay_alu instid0(VALU_DEP_4)
	v_add_f32_e32 v5, v19, v5
	ds_store_2addr_b32 v18, v35, v27 offset1:2
	ds_store_2addr_b32 v18, v21, v23 offset0:4 offset1:6
	ds_store_2addr_b32 v18, v26, v31 offset0:8 offset1:10
	;; [unrolled: 1-line block ×7, first 2 shown]
	ds_store_b32 v18, v22 offset:128
.LBB0_26:
	s_wait_alu 0xfffe
	s_or_b32 exec_lo, exec_lo, s2
	v_add_nc_u32_e32 v5, 0x600, v48
	global_wb scope:SCOPE_SE
	s_wait_dscnt 0x0
	s_barrier_signal -1
	s_barrier_wait -1
	global_inv scope:SCOPE_SE
	ds_load_2addr_b32 v[26:27], v5 offset0:126 offset1:194
	v_add_nc_u32_e32 v5, 0x800, v48
	v_add_nc_u32_e32 v20, 0x200, v48
	;; [unrolled: 1-line block ×4, first 2 shown]
	ds_load_2addr_b32 v[18:19], v48 offset0:68 offset1:136
	ds_load_2addr_b32 v[28:29], v5 offset0:134 offset1:202
	;; [unrolled: 1-line block ×5, first 2 shown]
	ds_load_b32 v58, v46
	ds_load_b32 v59, v48 offset:3672
	s_and_saveexec_b32 s1, s0
	s_cbranch_execz .LBB0_28
; %bb.27:
	ds_load_b32 v68, v48 offset:1904
	ds_load_b32 v69, v48 offset:3944
.LBB0_28:
	s_wait_alu 0xfffe
	s_or_b32 exec_lo, exec_lo, s1
	v_and_b32_e32 v5, 0xff, v49
	v_subrev_nc_u32_e32 v30, 34, v0
	v_and_b32_e32 v55, 0xff, v47
	v_dual_mov_b32 v61, 0 :: v_dual_and_b32 v32, 0xffff, v54
	s_delay_alu instid0(VALU_DEP_4)
	v_mul_lo_u16 v5, 0xf1, v5
	v_and_b32_e32 v31, 0xffff, v53
	v_and_b32_e32 v33, 0xffff, v40
	v_cndmask_b32_e64 v60, v30, v0, s0
	v_mul_lo_u16 v35, 0xf1, v55
	v_lshrrev_b16 v5, 13, v5
	v_mul_u32_u24_e32 v57, 0xf0f1, v31
	v_mul_u32_u24_e32 v56, 0xf0f1, v32
	;; [unrolled: 1-line block ×3, first 2 shown]
	v_lshlrev_b64_e32 v[30:31], 3, v[60:61]
	v_mul_lo_u16 v33, v5, 34
	v_lshrrev_b16 v61, 13, v35
	v_lshrrev_b32_e32 v64, 21, v56
	v_lshrrev_b32_e32 v65, 21, v32
	;; [unrolled: 1-line block ×3, first 2 shown]
	v_sub_nc_u16 v33, v49, v33
	v_mul_lo_u16 v32, v61, 34
	v_add_co_u32 v30, s1, s4, v30
	s_wait_alu 0xf1ff
	v_add_co_ci_u32_e64 v31, s1, s5, v31, s1
	v_and_b32_e32 v66, 0xff, v33
	v_sub_nc_u16 v32, v47, v32
	v_mul_lo_u16 v33, v64, 34
	v_mul_lo_u16 v35, v63, 34
	v_cmp_lt_u32_e64 s1, 33, v0
	v_lshlrev_b32_e32 v36, 3, v66
	v_and_b32_e32 v71, 0xff, v32
	v_sub_nc_u16 v38, v54, v33
	global_load_b64 v[32:33], v[30:31], off offset:256
	v_and_b32_e32 v34, 0xffff, v42
	v_sub_nc_u16 v35, v53, v35
	v_lshlrev_b32_e32 v30, 3, v71
	v_and_b32_e32 v73, 0xffff, v38
	s_wait_alu 0xf1ff
	v_cndmask_b32_e64 v76, 0, 0x110, s1
	v_mul_u32_u24_e32 v34, 0xf0f1, v34
	v_and_b32_e32 v72, 0xffff, v35
	v_lshlrev_b32_e32 v60, 2, v60
	v_and_b32_e32 v61, 0xffff, v61
	v_add_nc_u32_e32 v76, 0, v76
	v_lshrrev_b32_e32 v67, 21, v34
	v_mul_lo_u16 v34, v65, 34
	v_lshlrev_b32_e32 v31, 3, v72
	v_and_b32_e32 v5, 0xffff, v5
	v_add3_u32 v60, v76, v60, v51
	v_mul_lo_u16 v37, v67, 34
	v_sub_nc_u16 v34, v40, v34
	v_mad_u32_u24 v76, 0x110, v63, 0
	v_mad_u32_u24 v79, 0x110, v67, 0
	v_lshlrev_b32_e32 v63, 2, v66
	v_sub_nc_u16 v35, v42, v37
	v_and_b32_e32 v74, 0xffff, v34
	v_lshlrev_b32_e32 v34, 3, v73
	s_clause 0x2
	global_load_b64 v[42:43], v36, s[4:5] offset:256
	global_load_b64 v[44:45], v30, s[4:5] offset:256
	;; [unrolled: 1-line block ×3, first 2 shown]
	v_lshlrev_b32_e32 v67, 2, v73
	v_and_b32_e32 v75, 0xffff, v35
	v_and_b32_e32 v35, 0xffff, v1
	v_lshlrev_b32_e32 v37, 3, v74
	v_mad_u32_u24 v77, 0x110, v64, 0
	v_mad_u32_u24 v64, 0x110, v61, 0
	v_lshlrev_b32_e32 v38, 3, v75
	v_mul_u32_u24_e32 v30, 0xf0f1, v35
	s_clause 0x2
	global_load_b64 v[34:35], v34, s[4:5] offset:256
	global_load_b64 v[36:37], v37, s[4:5] offset:256
	;; [unrolled: 1-line block ×3, first 2 shown]
	v_mad_u32_u24 v5, 0x110, v5, 0
	v_mad_u32_u24 v78, 0x110, v65, 0
	v_lshrrev_b32_e32 v30, 21, v30
	v_lshlrev_b32_e32 v65, 2, v71
	s_delay_alu instid0(VALU_DEP_4) | instskip(NEXT) | instid1(VALU_DEP_3)
	v_add3_u32 v63, v5, v63, v51
	v_mul_lo_u16 v30, v30, 34
	s_delay_alu instid0(VALU_DEP_3) | instskip(NEXT) | instid1(VALU_DEP_2)
	v_add3_u32 v64, v64, v65, v51
	v_sub_nc_u16 v1, v1, v30
	s_delay_alu instid0(VALU_DEP_1) | instskip(NEXT) | instid1(VALU_DEP_1)
	v_and_b32_e32 v1, 0xffff, v1
	v_lshlrev_b32_e32 v61, 2, v1
	s_wait_loadcnt_dscnt 0x507
	v_mul_f32_e32 v5, v27, v43
	s_wait_loadcnt_dscnt 0x305
	v_dual_mul_f32 v73, v29, v41 :: v_dual_lshlrev_b32 v66, 2, v72
	v_lshlrev_b32_e32 v72, 2, v75
	s_delay_alu instid0(VALU_DEP_3) | instskip(NEXT) | instid1(VALU_DEP_3)
	v_fma_f32 v5, v11, v42, -v5
	v_fma_f32 v73, v9, v40, -v73
	s_delay_alu instid0(VALU_DEP_4)
	v_add3_u32 v65, v76, v66, v51
	v_add3_u32 v66, v77, v67, v51
	s_wait_loadcnt_dscnt 0x103
	v_mul_f32_e32 v75, v25, v37
	v_dual_mul_f32 v74, v24, v35 :: v_dual_lshlrev_b32 v71, 2, v74
	s_wait_loadcnt_dscnt 0x0
	v_mul_f32_e32 v76, v59, v39
	s_delay_alu instid0(VALU_DEP_3)
	v_fma_f32 v75, v7, v36, -v75
	v_lshlrev_b32_e32 v30, 3, v1
	v_mul_f32_e32 v1, v26, v33
	v_add3_u32 v67, v78, v71, v51
	v_add3_u32 v71, v79, v72, v51
	v_mul_f32_e32 v72, v28, v45
	global_load_b64 v[30:31], v30, s[4:5] offset:256
	v_fma_f32 v1, v10, v32, -v1
	v_fma_f32 v74, v6, v34, -v74
	global_wb scope:SCOPE_SE
	s_wait_loadcnt 0x0
	v_fma_f32 v72, v8, v44, -v72
	s_barrier_signal -1
	v_sub_f32_e32 v1, v70, v1
	s_barrier_wait -1
	global_inv scope:SCOPE_SE
	v_fma_f32 v76, v62, v38, -v76
	v_fma_f32 v70, v70, 2.0, -v1
	ds_store_2addr_b32 v60, v70, v1 offset1:34
	v_sub_f32_e32 v1, v12, v5
	v_dual_sub_f32 v5, v13, v72 :: v_dual_sub_f32 v70, v14, v73
	v_dual_sub_f32 v73, v16, v75 :: v_dual_sub_f32 v72, v15, v74
	v_sub_f32_e32 v74, v17, v76
	s_delay_alu instid0(VALU_DEP_4) | instskip(NEXT) | instid1(VALU_DEP_4)
	v_fma_f32 v12, v12, 2.0, -v1
	v_fma_f32 v13, v13, 2.0, -v5
	;; [unrolled: 1-line block ×6, first 2 shown]
	ds_store_2addr_b32 v63, v12, v1 offset1:34
	ds_store_2addr_b32 v64, v13, v5 offset1:34
	;; [unrolled: 1-line block ×6, first 2 shown]
	s_and_saveexec_b32 s1, s0
	s_cbranch_execz .LBB0_30
; %bb.29:
	v_mul_f32_e32 v1, v69, v31
	v_add3_u32 v5, 0, v61, v51
	s_delay_alu instid0(VALU_DEP_2) | instskip(NEXT) | instid1(VALU_DEP_2)
	v_fma_f32 v1, v50, v30, -v1
	v_add_nc_u32_e32 v5, 0xc00, v5
	s_delay_alu instid0(VALU_DEP_2) | instskip(NEXT) | instid1(VALU_DEP_1)
	v_sub_f32_e32 v1, v52, v1
	v_fma_f32 v12, v52, 2.0, -v1
	ds_store_2addr_b32 v5, v12, v1 offset0:184 offset1:218
.LBB0_30:
	s_wait_alu 0xfffe
	s_or_b32 exec_lo, exec_lo, s1
	v_dual_mul_f32 v1, v10, v33 :: v_dual_mul_f32 v10, v11, v43
	v_mul_f32_e32 v9, v9, v41
	v_dual_mul_f32 v8, v8, v45 :: v_dual_lshlrev_b32 v5, 1, v0
	v_mul_f32_e32 v6, v6, v35
	s_delay_alu instid0(VALU_DEP_3) | instskip(SKIP_1) | instid1(VALU_DEP_4)
	v_dual_fmac_f32 v10, v27, v42 :: v_dual_fmac_f32 v9, v29, v40
	v_fmac_f32_e32 v1, v26, v32
	v_dual_fmac_f32 v8, v28, v44 :: v_dual_mul_f32 v35, v7, v37
	v_mul_f32_e32 v37, v62, v39
	s_delay_alu instid0(VALU_DEP_4) | instskip(NEXT) | instid1(VALU_DEP_4)
	v_sub_f32_e32 v40, v18, v10
	v_dual_fmac_f32 v6, v24, v34 :: v_dual_sub_f32 v39, v58, v1
	s_delay_alu instid0(VALU_DEP_3) | instskip(SKIP_1) | instid1(VALU_DEP_3)
	v_dual_fmac_f32 v37, v59, v38 :: v_dual_add_nc_u32 v26, 0x800, v48
	v_add_nc_u32_e32 v28, 0xa00, v48
	v_dual_sub_f32 v6, v21, v6 :: v_dual_add_nc_u32 v1, 0x400, v48
	v_add_nc_u32_e32 v27, 0x600, v48
	v_dual_sub_f32 v41, v20, v9 :: v_dual_add_nc_u32 v32, 0x200, v48
	v_add_nc_u32_e32 v29, 0xc00, v48
	v_fmac_f32_e32 v35, v25, v36
	v_fma_f32 v36, v18, 2.0, -v40
	v_sub_f32_e32 v38, v19, v8
	global_wb scope:SCOPE_SE
	s_wait_dscnt 0x0
	s_barrier_signal -1
	s_barrier_wait -1
	global_inv scope:SCOPE_SE
	ds_load_b32 v33, v46
	ds_load_2addr_b32 v[24:25], v1 offset0:84 offset1:152
	ds_load_2addr_b32 v[15:16], v26 offset0:100 offset1:168
	;; [unrolled: 1-line block ×7, first 2 shown]
	v_fma_f32 v34, v58, 2.0, -v39
	v_sub_f32_e32 v35, v22, v35
	v_sub_f32_e32 v37, v23, v37
	v_fma_f32 v19, v19, 2.0, -v38
	v_fma_f32 v20, v20, 2.0, -v41
	;; [unrolled: 1-line block ×5, first 2 shown]
	global_wb scope:SCOPE_SE
	s_wait_dscnt 0x0
	s_barrier_signal -1
	s_barrier_wait -1
	global_inv scope:SCOPE_SE
	ds_store_2addr_b32 v60, v34, v39 offset1:34
	ds_store_2addr_b32 v63, v36, v40 offset1:34
	;; [unrolled: 1-line block ×7, first 2 shown]
	s_and_saveexec_b32 s1, s0
	s_cbranch_execz .LBB0_32
; %bb.31:
	v_mul_f32_e32 v6, v50, v31
	v_add3_u32 v19, 0, v61, v51
	s_delay_alu instid0(VALU_DEP_1) | instskip(NEXT) | instid1(VALU_DEP_1)
	v_dual_fmac_f32 v6, v69, v30 :: v_dual_add_nc_u32 v19, 0xc00, v19
	v_sub_f32_e32 v6, v68, v6
	s_delay_alu instid0(VALU_DEP_1)
	v_fma_f32 v20, v68, 2.0, -v6
	ds_store_2addr_b32 v19, v20, v6 offset0:184 offset1:218
.LBB0_32:
	s_wait_alu 0xfffe
	s_or_b32 exec_lo, exec_lo, s1
	v_mov_b32_e32 v6, 0
	v_lshrrev_b32_e32 v21, 22, v56
	global_wb scope:SCOPE_SE
	s_wait_dscnt 0x0
	s_barrier_signal -1
	s_barrier_wait -1
	v_lshlrev_b64_e32 v[19:20], 3, v[5:6]
	global_inv scope:SCOPE_SE
	v_mul_lo_u16 v23, 0x44, v21
	v_lshrrev_b32_e32 v5, 22, v57
	v_mul_lo_u16 v30, 0x79, v55
	v_add_co_u32 v19, s0, s4, v19
	s_wait_alu 0xf1ff
	v_add_co_ci_u32_e64 v20, s0, s5, v20, s0
	v_mul_lo_u16 v5, 0x44, v5
	v_lshrrev_b16 v30, 13, v30
	v_sub_nc_u16 v23, v54, v23
	global_load_b128 v[19:22], v[19:20], off offset:528
	v_sub_nc_u16 v5, v53, v5
	v_mul_lo_u16 v30, 0x44, v30
	v_and_b32_e32 v23, 0xffff, v23
	s_delay_alu instid0(VALU_DEP_3) | instskip(NEXT) | instid1(VALU_DEP_3)
	v_and_b32_e32 v5, 0xffff, v5
	v_sub_nc_u16 v30, v47, v30
	s_delay_alu instid0(VALU_DEP_2) | instskip(NEXT) | instid1(VALU_DEP_2)
	v_lshlrev_b32_e32 v31, 4, v5
	v_and_b32_e32 v50, 0xff, v30
	s_wait_loadcnt 0x0
	v_dual_mul_f32 v68, v24, v20 :: v_dual_lshlrev_b32 v5, 2, v5
	v_lshlrev_b32_e32 v38, 4, v23
	v_mul_f32_e32 v70, v16, v22
	s_clause 0x1
	global_load_b128 v[34:37], v31, s[4:5] offset:528
	global_load_b128 v[38:41], v38, s[4:5] offset:528
	v_lshlrev_b32_e32 v30, 4, v50
	global_load_b128 v[42:45], v30, s[4:5] offset:528
	ds_load_b32 v64, v46
	ds_load_2addr_b32 v[30:31], v1 offset0:84 offset1:152
	ds_load_2addr_b32 v[52:53], v26 offset0:100 offset1:168
	;; [unrolled: 1-line block ×7, first 2 shown]
	v_lshlrev_b32_e32 v23, 2, v23
	global_wb scope:SCOPE_SE
	s_wait_loadcnt_dscnt 0x0
	s_barrier_signal -1
	s_barrier_wait -1
	global_inv scope:SCOPE_SE
	v_mul_f32_e32 v67, v30, v20
	v_dual_mul_f32 v71, v31, v20 :: v_dual_lshlrev_b32 v50, 2, v50
	v_mul_f32_e32 v72, v56, v22
	v_add3_u32 v23, 0, v23, v51
	v_mul_f32_e32 v20, v25, v20
	v_add3_u32 v5, 0, v5, v51
	v_mul_f32_e32 v69, v53, v22
	s_delay_alu instid0(VALU_DEP_4)
	v_dual_mul_f32 v22, v11, v22 :: v_dual_add_nc_u32 v65, 0xc00, v23
	v_fma_f32 v24, v24, v19, -v67
	v_fmac_f32_e32 v70, v53, v21
	v_fma_f32 v25, v25, v19, -v71
	v_fmac_f32_e32 v20, v31, v19
	v_fma_f32 v16, v16, v21, -v69
	v_fma_f32 v11, v11, v21, -v72
	v_fmac_f32_e32 v22, v56, v21
	v_dual_fmac_f32 v68, v30, v19 :: v_dual_add_f32 v53, v33, v24
	v_add_f32_e32 v74, v54, v20
	v_add_f32_e32 v56, v24, v16
	v_dual_sub_f32 v24, v24, v16 :: v_dual_add_f32 v71, v7, v25
	s_delay_alu instid0(VALU_DEP_4) | instskip(SKIP_2) | instid1(VALU_DEP_3)
	v_dual_add_f32 v69, v64, v68 :: v_dual_add_f32 v72, v25, v11
	v_sub_f32_e32 v25, v25, v11
	v_add_f32_e32 v16, v53, v16
	v_fma_f32 v7, -0.5, v72, v7
	v_mul_f32_e32 v19, v59, v35
	v_mul_f32_e32 v21, v14, v35
	v_add3_u32 v50, 0, v50, v51
	v_add_nc_u32_e32 v51, 0x800, v5
	v_mul_f32_e32 v30, v62, v37
	v_mul_f32_e32 v31, v17, v37
	s_delay_alu instid0(VALU_DEP_4)
	v_dual_mul_f32 v35, v52, v39 :: v_dual_add_nc_u32 v66, 0x400, v50
	v_mul_f32_e32 v37, v15, v39
	v_mul_f32_e32 v39, v63, v41
	v_sub_f32_e32 v73, v20, v22
	v_add_f32_e32 v20, v20, v22
	v_fma_f32 v14, v14, v34, -v19
	v_fma_f32 v17, v17, v36, -v30
	v_dual_mul_f32 v75, v58, v43 :: v_dual_mul_f32 v76, v57, v45
	v_mul_f32_e32 v41, v18, v41
	v_sub_f32_e32 v67, v68, v70
	v_dual_add_f32 v68, v68, v70 :: v_dual_mul_f32 v43, v13, v43
	v_dual_mul_f32 v45, v12, v45 :: v_dual_add_f32 v30, v69, v70
	v_fmac_f32_e32 v21, v59, v34
	v_fma_f32 v15, v15, v38, -v35
	v_fma_f32 v18, v18, v40, -v39
	v_fma_f32 v34, -0.5, v20, v54
	v_add_f32_e32 v20, v14, v17
	v_dual_fmac_f32 v31, v62, v36 :: v_dual_add_f32 v36, v60, v21
	v_fmac_f32_e32 v33, -0.5, v56
	v_fma_f32 v13, v13, v42, -v75
	v_fma_f32 v12, v12, v44, -v76
	v_fmac_f32_e32 v37, v52, v38
	v_dual_fmac_f32 v41, v63, v40 :: v_dual_add_f32 v22, v74, v22
	v_fmac_f32_e32 v64, -0.5, v68
	v_dual_fmac_f32 v45, v57, v44 :: v_dual_sub_f32 v44, v15, v18
	v_add_f32_e32 v19, v9, v14
	v_sub_f32_e32 v35, v21, v31
	v_dual_add_f32 v21, v21, v31 :: v_dual_sub_f32 v14, v14, v17
	v_dual_fmac_f32 v43, v58, v42 :: v_dual_add_f32 v42, v61, v37
	v_dual_add_f32 v39, v15, v18 :: v_dual_add_f32 v38, v10, v15
	v_dual_fmamk_f32 v15, v67, 0x3f5db3d7, v33 :: v_dual_add_f32 v54, v13, v12
	v_dual_add_f32 v11, v71, v11 :: v_dual_sub_f32 v40, v37, v41
	s_delay_alu instid0(VALU_DEP_3)
	v_dual_add_f32 v37, v37, v41 :: v_dual_add_f32 v18, v38, v18
	v_dual_fmac_f32 v33, 0xbf5db3d7, v67 :: v_dual_sub_f32 v56, v43, v45
	v_fmamk_f32 v52, v24, 0xbf5db3d7, v64
	v_fmac_f32_e32 v64, 0x3f5db3d7, v24
	v_fmamk_f32 v24, v73, 0x3f5db3d7, v7
	v_dual_fmac_f32 v7, 0xbf5db3d7, v73 :: v_dual_fmac_f32 v10, -0.5, v39
	v_dual_fmamk_f32 v53, v25, 0xbf5db3d7, v34 :: v_dual_add_f32 v38, v42, v41
	v_fmac_f32_e32 v34, 0x3f5db3d7, v25
	v_dual_add_f32 v25, v8, v13 :: v_dual_fmac_f32 v8, -0.5, v54
	v_fma_f32 v9, -0.5, v20, v9
	v_add_f32_e32 v31, v36, v31
	v_fma_f32 v36, -0.5, v21, v60
	v_add_f32_e32 v57, v55, v43
	v_add_f32_e32 v43, v43, v45
	v_sub_f32_e32 v13, v13, v12
	v_add_f32_e32 v17, v19, v17
	v_fmac_f32_e32 v61, -0.5, v37
	ds_store_2addr_b32 v48, v16, v15 offset1:68
	ds_store_2addr_b32 v48, v33, v11 offset0:136 offset1:204
	ds_store_2addr_b32 v1, v24, v7 offset0:16 offset1:84
	v_add_f32_e32 v7, v25, v12
	v_dual_fmamk_f32 v11, v35, 0x3f5db3d7, v9 :: v_dual_fmamk_f32 v12, v40, 0x3f5db3d7, v10
	v_fmac_f32_e32 v55, -0.5, v43
	v_fmamk_f32 v25, v14, 0xbf5db3d7, v36
	v_fmac_f32_e32 v36, 0x3f5db3d7, v14
	v_fmamk_f32 v14, v56, 0x3f5db3d7, v8
	v_dual_fmac_f32 v8, 0xbf5db3d7, v56 :: v_dual_fmac_f32 v9, 0xbf5db3d7, v35
	v_dual_fmac_f32 v10, 0xbf5db3d7, v40 :: v_dual_fmamk_f32 v33, v13, 0xbf5db3d7, v55
	v_fmac_f32_e32 v55, 0x3f5db3d7, v13
	ds_store_2addr_b32 v51, v17, v11 offset0:100 offset1:168
	ds_store_2addr_b32 v65, v18, v12 offset0:48 offset1:116
	;; [unrolled: 1-line block ×3, first 2 shown]
	ds_store_b32 v50, v8 offset:2176
	ds_store_b32 v5, v9 offset:2992
	;; [unrolled: 1-line block ×3, first 2 shown]
	global_wb scope:SCOPE_SE
	s_wait_dscnt 0x0
	s_barrier_signal -1
	s_barrier_wait -1
	global_inv scope:SCOPE_SE
	ds_load_b32 v21, v46
	ds_load_2addr_b32 v[11:12], v32 offset0:76 offset1:144
	ds_load_2addr_b32 v[19:20], v1 offset0:84 offset1:152
	;; [unrolled: 1-line block ×7, first 2 shown]
	v_fmamk_f32 v26, v44, 0xbf5db3d7, v61
	v_dual_add_f32 v24, v57, v45 :: v_dual_fmac_f32 v61, 0x3f5db3d7, v44
	global_wb scope:SCOPE_SE
	s_wait_dscnt 0x0
	s_barrier_signal -1
	s_barrier_wait -1
	global_inv scope:SCOPE_SE
	ds_store_2addr_b32 v48, v30, v52 offset1:68
	ds_store_2addr_b32 v48, v64, v22 offset0:136 offset1:204
	ds_store_2addr_b32 v1, v53, v34 offset0:16 offset1:84
	;; [unrolled: 1-line block ×5, first 2 shown]
	ds_store_b32 v50, v55 offset:2176
	ds_store_b32 v5, v36 offset:2992
	;; [unrolled: 1-line block ×3, first 2 shown]
	global_wb scope:SCOPE_SE
	s_wait_dscnt 0x0
	s_barrier_signal -1
	s_barrier_wait -1
	global_inv scope:SCOPE_SE
	s_and_saveexec_b32 s0, vcc_lo
	s_cbranch_execz .LBB0_34
; %bb.33:
	v_lshlrev_b32_e32 v5, 2, v47
	v_dual_mov_b32 v1, v6 :: v_dual_add_nc_u32 v52, 0xc00, v48
	v_mul_hi_u32 v55, 0xa0a0a0a1, v47
	s_delay_alu instid0(VALU_DEP_3) | instskip(SKIP_1) | instid1(VALU_DEP_4)
	v_lshlrev_b64_e32 v[22:23], 3, v[5:6]
	v_mov_b32_e32 v5, v6
	v_lshlrev_b64_e32 v[0:1], 3, v[0:1]
	s_delay_alu instid0(VALU_DEP_2) | instskip(NEXT) | instid1(VALU_DEP_4)
	v_lshlrev_b64_e32 v[4:5], 3, v[4:5]
	v_add_co_u32 v26, vcc_lo, s4, v22
	s_wait_alu 0xfffd
	v_add_co_ci_u32_e32 v27, vcc_lo, s5, v23, vcc_lo
	s_clause 0x1
	global_load_b128 v[22:25], v[26:27], off offset:1632
	global_load_b128 v[26:29], v[26:27], off offset:1616
	v_add_co_u32 v34, vcc_lo, s4, v4
	s_wait_alu 0xfffd
	v_add_co_ci_u32_e32 v35, vcc_lo, s5, v5, vcc_lo
	s_clause 0x1
	global_load_b128 v[30:33], v[34:35], off offset:1616
	global_load_b128 v[34:37], v[34:35], off offset:1632
	v_lshlrev_b32_e32 v5, 2, v49
	v_add_nc_u32_e32 v53, 0xa00, v48
	v_add_nc_u32_e32 v54, 0x200, v48
	;; [unrolled: 1-line block ×3, first 2 shown]
	s_delay_alu instid0(VALU_DEP_4) | instskip(NEXT) | instid1(VALU_DEP_1)
	v_lshlrev_b64_e32 v[4:5], 3, v[5:6]
	v_add_co_u32 v4, vcc_lo, s4, v4
	s_wait_alu 0xfffd
	s_delay_alu instid0(VALU_DEP_2)
	v_add_co_ci_u32_e32 v5, vcc_lo, s5, v5, vcc_lo
	s_clause 0x1
	global_load_b128 v[38:41], v[4:5], off offset:1616
	global_load_b128 v[42:45], v[4:5], off offset:1632
	v_add_nc_u32_e32 v4, 0x400, v48
	v_add_nc_u32_e32 v5, 0x600, v48
	ds_load_2addr_b32 v[50:51], v48 offset0:68 offset1:136
	v_mul_hi_u32 v48, 0xa0a0a0a1, v49
	v_add_co_u32 v61, vcc_lo, s8, v2
	s_wait_alu 0xfffd
	v_add_co_ci_u32_e32 v62, vcc_lo, s9, v3, vcc_lo
	ds_load_b32 v60, v46
	v_add_co_u32 v0, vcc_lo, v61, v0
	v_lshrrev_b32_e32 v57, 7, v48
	s_wait_alu 0xfffd
	v_add_co_ci_u32_e32 v1, vcc_lo, v62, v1, vcc_lo
	s_wait_loadcnt 0x5
	v_mul_f32_e32 v63, v17, v23
	s_wait_loadcnt 0x4
	v_mul_f32_e32 v61, v14, v29
	v_mul_f32_e32 v62, v16, v25
	s_wait_loadcnt 0x3
	v_mul_f32_e32 v64, v11, v31
	s_wait_loadcnt 0x2
	v_mul_f32_e32 v66, v18, v37
	ds_load_2addr_b32 v[2:3], v4 offset0:84 offset1:152
	ds_load_2addr_b32 v[46:47], v5 offset0:92 offset1:160
	;; [unrolled: 1-line block ×4, first 2 shown]
	v_mul_u32_u24_e32 v5, 0x330, v57
	v_lshrrev_b32_e32 v4, 7, v55
	ds_load_2addr_b32 v[54:55], v54 offset0:76 offset1:144
	ds_load_2addr_b32 v[56:57], v56 offset0:100 offset1:168
	v_mul_f32_e32 v65, v20, v33
	v_mul_f32_e32 v67, v9, v35
	v_lshlrev_b64_e32 v[58:59], 3, v[5:6]
	v_mul_u32_u24_e32 v5, 0x330, v4
	s_delay_alu instid0(VALU_DEP_1) | instskip(SKIP_1) | instid1(VALU_DEP_4)
	v_lshlrev_b64_e32 v[4:5], 3, v[5:6]
	v_mul_f32_e32 v6, v19, v27
	v_add_co_u32 v58, vcc_lo, v0, v58
	s_wait_alu 0xfffd
	v_add_co_ci_u32_e32 v59, vcc_lo, v1, v59, vcc_lo
	s_wait_dscnt 0x4
	v_dual_mul_f32 v29, v47, v29 :: v_dual_fmac_f32 v6, v2, v26
	s_wait_dscnt 0x2
	v_dual_mul_f32 v23, v52, v23 :: v_dual_fmac_f32 v62, v49, v24
	v_dual_mul_f32 v27, v2, v27 :: v_dual_fmac_f32 v66, v53, v36
	s_wait_dscnt 0x0
	v_mul_f32_e32 v35, v56, v35
	v_mul_f32_e32 v25, v49, v25
	v_fma_f32 v14, v14, v28, -v29
	v_fma_f32 v2, v19, v26, -v27
	s_wait_loadcnt 0x0
	v_mul_f32_e32 v26, v57, v43
	v_fmac_f32_e32 v64, v54, v30
	v_fmac_f32_e32 v67, v56, v34
	v_fma_f32 v27, v9, v34, -v35
	v_fmac_f32_e32 v65, v3, v32
	v_fmac_f32_e32 v63, v52, v22
	v_fma_f32 v22, v17, v22, -v23
	v_mul_f32_e32 v33, v3, v33
	v_mul_f32_e32 v37, v53, v37
	v_dual_fmac_f32 v61, v47, v28 :: v_dual_add_f32 v52, v8, v2
	v_fma_f32 v24, v16, v24, -v25
	v_mul_f32_e32 v31, v54, v31
	v_dual_mul_f32 v16, v12, v39 :: v_dual_mul_f32 v23, v13, v41
	v_sub_f32_e32 v28, v14, v22
	v_fma_f32 v20, v20, v32, -v33
	v_mul_f32_e32 v25, v46, v41
	v_dual_mul_f32 v49, v15, v45 :: v_dual_sub_f32 v32, v24, v22
	v_fma_f32 v3, v11, v30, -v31
	v_fma_f32 v30, v18, v36, -v37
	v_dual_mul_f32 v19, v48, v45 :: v_dual_fmac_f32 v16, v55, v38
	v_fmac_f32_e32 v23, v46, v40
	v_fma_f32 v25, v13, v40, -v25
	v_fma_f32 v40, v10, v42, -v26
	v_add_f32_e32 v26, v20, v27
	v_mul_f32_e32 v17, v55, v39
	v_dual_mul_f32 v47, v10, v43 :: v_dual_sub_f32 v36, v61, v6
	v_sub_f32_e32 v10, v64, v65
	v_fmac_f32_e32 v49, v48, v44
	s_delay_alu instid0(VALU_DEP_4)
	v_fma_f32 v12, v12, v38, -v17
	v_fma_f32 v38, v15, v44, -v19
	v_sub_f32_e32 v48, v65, v67
	v_dual_add_f32 v18, v61, v63 :: v_dual_sub_f32 v9, v6, v61
	v_dual_sub_f32 v46, v64, v66 :: v_dual_sub_f32 v11, v62, v63
	v_dual_sub_f32 v29, v2, v24 :: v_dual_sub_f32 v56, v20, v3
	v_sub_f32_e32 v31, v2, v14
	v_dual_sub_f32 v34, v6, v62 :: v_dual_sub_f32 v35, v61, v63
	v_dual_add_f32 v68, v3, v30 :: v_dual_add_f32 v45, v2, v24
	v_dual_fmac_f32 v47, v57, v42 :: v_dual_sub_f32 v76, v38, v40
	v_sub_f32_e32 v44, v3, v30
	v_sub_f32_e32 v17, v3, v20
	;; [unrolled: 1-line block ×3, first 2 shown]
	v_add_f32_e32 v55, v64, v66
	v_dual_add_f32 v64, v64, v60 :: v_dual_add_f32 v33, v14, v22
	v_dual_add_f32 v32, v31, v32 :: v_dual_add_f32 v69, v21, v3
	v_fma_f32 v3, -0.5, v18, v51
	v_add_f32_e32 v18, v52, v14
	v_add_f32_e32 v52, v12, v38
	v_dual_add_f32 v39, v6, v62 :: v_dual_sub_f32 v72, v16, v23
	v_add_f32_e32 v6, v6, v51
	v_dual_sub_f32 v41, v14, v2 :: v_dual_add_f32 v74, v23, v47
	v_dual_sub_f32 v43, v22, v24 :: v_dual_add_f32 v70, v9, v11
	s_delay_alu instid0(VALU_DEP_3) | instskip(SKIP_4) | instid1(VALU_DEP_4)
	v_add_f32_e32 v6, v61, v6
	v_sub_f32_e32 v37, v63, v62
	v_dual_sub_f32 v13, v66, v67 :: v_dual_add_f32 v78, v16, v50
	v_fma_f32 v2, -0.5, v33, v8
	v_fma_f32 v8, -0.5, v45, v8
	v_dual_sub_f32 v54, v67, v66 :: v_dual_add_f32 v33, v36, v37
	v_fma_f32 v9, -0.5, v39, v51
	v_dual_add_f32 v36, v41, v43 :: v_dual_sub_f32 v75, v12, v25
	v_dual_sub_f32 v39, v12, v38 :: v_dual_add_f32 v80, v10, v13
	v_sub_f32_e32 v71, v16, v49
	v_add_f32_e32 v79, v7, v12
	v_fma_f32 v10, -0.5, v26, v21
	v_sub_f32_e32 v57, v27, v30
	v_dual_add_f32 v41, v16, v49 :: v_dual_fmamk_f32 v14, v34, 0xbf737871, v2
	v_sub_f32_e32 v45, v25, v12
	v_fma_f32 v12, -0.5, v68, v21
	v_sub_f32_e32 v31, v23, v16
	v_fmamk_f32 v16, v35, 0xbf737871, v8
	v_dual_fmac_f32 v2, 0x3f737871, v34 :: v_dual_add_f32 v15, v65, v67
	v_dual_sub_f32 v19, v30, v27 :: v_dual_add_f32 v26, v65, v64
	s_delay_alu instid0(VALU_DEP_2) | instskip(NEXT) | instid1(VALU_DEP_4)
	v_dual_sub_f32 v51, v40, v38 :: v_dual_fmac_f32 v2, 0x3f167918, v35
	v_dual_sub_f32 v61, v23, v47 :: v_dual_fmac_f32 v16, 0x3f167918, v34
	v_dual_add_f32 v53, v53, v54 :: v_dual_add_f32 v54, v56, v57
	v_add_f32_e32 v56, v63, v6
	v_fmac_f32_e32 v8, 0x3f737871, v35
	v_fma_f32 v13, -0.5, v55, v60
	v_fmamk_f32 v6, v46, 0xbf737871, v10
	v_add_f32_e32 v57, v18, v22
	v_fma_f32 v18, -0.5, v52, v7
	v_dual_add_f32 v77, v25, v40 :: v_dual_fmamk_f32 v22, v48, 0x3f737871, v12
	v_dual_add_f32 v55, v69, v20 :: v_dual_sub_f32 v42, v20, v27
	v_dual_sub_f32 v43, v25, v40 :: v_dual_add_f32 v52, v67, v26
	v_fma_f32 v11, -0.5, v15, v60
	v_fmamk_f32 v26, v61, 0x3f737871, v18
	v_fmac_f32_e32 v18, 0xbf737871, v61
	v_fma_f32 v20, -0.5, v77, v7
	v_dual_fmac_f32 v22, 0xbf167918, v46 :: v_dual_add_f32 v55, v55, v27
	v_fmac_f32_e32 v2, 0x3e9e377a, v32
	v_fmamk_f32 v15, v29, 0x3f737871, v3
	v_fmac_f32_e32 v3, 0xbf737871, v29
	v_fmac_f32_e32 v10, 0x3f737871, v46
	v_add_f32_e32 v30, v30, v55
	v_fmac_f32_e32 v14, 0xbf167918, v35
	v_dual_fmac_f32 v8, 0xbf167918, v34 :: v_dual_add_f32 v81, v17, v19
	v_fmamk_f32 v17, v28, 0x3f737871, v9
	v_fmac_f32_e32 v9, 0xbf737871, v28
	v_fma_f32 v19, -0.5, v41, v50
	v_dual_add_f32 v41, v45, v51 :: v_dual_fmac_f32 v10, 0x3f167918, v48
	v_dual_fmac_f32 v15, 0x3f167918, v28 :: v_dual_fmac_f32 v18, 0x3f167918, v71
	v_fmac_f32_e32 v3, 0xbf167918, v28
	v_fmamk_f32 v28, v71, 0x3f737871, v20
	v_fmac_f32_e32 v20, 0xbf737871, v71
	v_dual_add_f32 v51, v25, v79 :: v_dual_fmac_f32 v8, 0x3e9e377a, v36
	v_dual_sub_f32 v37, v47, v49 :: v_dual_fmac_f32 v12, 0xbf737871, v48
	v_fma_f32 v21, -0.5, v74, v50
	v_dual_fmac_f32 v6, 0xbf167918, v48 :: v_dual_sub_f32 v73, v49, v47
	s_delay_alu instid0(VALU_DEP_4) | instskip(SKIP_1) | instid1(VALU_DEP_3)
	v_dual_add_f32 v24, v24, v57 :: v_dual_add_f32 v35, v51, v40
	v_fmamk_f32 v7, v44, 0x3f737871, v11
	v_fmac_f32_e32 v6, 0x3e9e377a, v81
	v_fmac_f32_e32 v11, 0xbf737871, v44
	v_dual_add_f32 v37, v31, v37 :: v_dual_fmac_f32 v12, 0x3f167918, v46
	v_dual_add_f32 v31, v23, v78 :: v_dual_fmac_f32 v16, 0x3e9e377a, v36
	v_fmamk_f32 v23, v42, 0xbf737871, v13
	v_fmac_f32_e32 v13, 0x3f737871, v42
	v_dual_add_f32 v45, v72, v73 :: v_dual_fmac_f32 v14, 0x3e9e377a, v32
	v_dual_add_f32 v50, v75, v76 :: v_dual_fmac_f32 v9, 0x3f167918, v29
	v_fmamk_f32 v27, v43, 0xbf737871, v19
	v_dual_fmac_f32 v19, 0x3f737871, v43 :: v_dual_add_f32 v32, v35, v38
	v_dual_fmac_f32 v17, 0xbf167918, v29 :: v_dual_fmac_f32 v26, 0xbf167918, v71
	v_fmamk_f32 v29, v39, 0xbf737871, v21
	v_fmac_f32_e32 v21, 0x3f737871, v39
	v_fmac_f32_e32 v11, 0xbf167918, v42
	;; [unrolled: 1-line block ×5, first 2 shown]
	v_dual_add_f32 v25, v62, v56 :: v_dual_fmac_f32 v28, 0x3f167918, v61
	v_dual_add_f32 v34, v47, v31 :: v_dual_add_f32 v31, v66, v52
	v_fmac_f32_e32 v22, 0x3e9e377a, v54
	v_fmac_f32_e32 v27, 0x3f167918, v39
	v_fmac_f32_e32 v19, 0xbf167918, v39
	v_fmac_f32_e32 v29, 0xbf167918, v43
	v_fmac_f32_e32 v21, 0x3f167918, v43
	v_fmac_f32_e32 v20, 0xbf167918, v61
	v_dual_fmac_f32 v15, 0x3e9e377a, v70 :: v_dual_fmac_f32 v10, 0x3e9e377a, v81
	v_fmac_f32_e32 v11, 0x3e9e377a, v80
	v_dual_fmac_f32 v17, 0x3e9e377a, v33 :: v_dual_fmac_f32 v12, 0x3e9e377a, v54
	v_fmac_f32_e32 v13, 0x3e9e377a, v53
	v_add_co_u32 v4, vcc_lo, v0, v4
	v_fmac_f32_e32 v23, 0x3e9e377a, v53
	v_dual_fmac_f32 v7, 0x3e9e377a, v80 :: v_dual_fmac_f32 v20, 0x3e9e377a, v50
	s_wait_alu 0xfffd
	v_add_co_ci_u32_e32 v5, vcc_lo, v1, v5, vcc_lo
	v_dual_fmac_f32 v9, 0x3e9e377a, v33 :: v_dual_fmac_f32 v28, 0x3e9e377a, v50
	v_dual_fmac_f32 v3, 0x3e9e377a, v70 :: v_dual_fmac_f32 v26, 0x3e9e377a, v41
	v_dual_add_f32 v33, v49, v34 :: v_dual_fmac_f32 v18, 0x3e9e377a, v41
	v_fmac_f32_e32 v27, 0x3e9e377a, v37
	v_fmac_f32_e32 v19, 0x3e9e377a, v37
	;; [unrolled: 1-line block ×4, first 2 shown]
	s_clause 0xe
	global_store_b64 v[0:1], v[30:31], off
	global_store_b64 v[0:1], v[10:11], off offset:1632
	global_store_b64 v[0:1], v[12:13], off offset:3264
	;; [unrolled: 1-line block ×14, first 2 shown]
.LBB0_34:
	s_nop 0
	s_sendmsg sendmsg(MSG_DEALLOC_VGPRS)
	s_endpgm
	.section	.rodata,"a",@progbits
	.p2align	6, 0x0
	.amdhsa_kernel fft_rtc_fwd_len1020_factors_2_17_2_3_5_wgs_204_tpt_68_halfLds_sp_ip_CI_unitstride_sbrr_dirReg
		.amdhsa_group_segment_fixed_size 0
		.amdhsa_private_segment_fixed_size 0
		.amdhsa_kernarg_size 88
		.amdhsa_user_sgpr_count 2
		.amdhsa_user_sgpr_dispatch_ptr 0
		.amdhsa_user_sgpr_queue_ptr 0
		.amdhsa_user_sgpr_kernarg_segment_ptr 1
		.amdhsa_user_sgpr_dispatch_id 0
		.amdhsa_user_sgpr_private_segment_size 0
		.amdhsa_wavefront_size32 1
		.amdhsa_uses_dynamic_stack 0
		.amdhsa_enable_private_segment 0
		.amdhsa_system_sgpr_workgroup_id_x 1
		.amdhsa_system_sgpr_workgroup_id_y 0
		.amdhsa_system_sgpr_workgroup_id_z 0
		.amdhsa_system_sgpr_workgroup_info 0
		.amdhsa_system_vgpr_workitem_id 0
		.amdhsa_next_free_vgpr 112
		.amdhsa_next_free_sgpr 32
		.amdhsa_reserve_vcc 1
		.amdhsa_float_round_mode_32 0
		.amdhsa_float_round_mode_16_64 0
		.amdhsa_float_denorm_mode_32 3
		.amdhsa_float_denorm_mode_16_64 3
		.amdhsa_fp16_overflow 0
		.amdhsa_workgroup_processor_mode 1
		.amdhsa_memory_ordered 1
		.amdhsa_forward_progress 0
		.amdhsa_round_robin_scheduling 0
		.amdhsa_exception_fp_ieee_invalid_op 0
		.amdhsa_exception_fp_denorm_src 0
		.amdhsa_exception_fp_ieee_div_zero 0
		.amdhsa_exception_fp_ieee_overflow 0
		.amdhsa_exception_fp_ieee_underflow 0
		.amdhsa_exception_fp_ieee_inexact 0
		.amdhsa_exception_int_div_zero 0
	.end_amdhsa_kernel
	.text
.Lfunc_end0:
	.size	fft_rtc_fwd_len1020_factors_2_17_2_3_5_wgs_204_tpt_68_halfLds_sp_ip_CI_unitstride_sbrr_dirReg, .Lfunc_end0-fft_rtc_fwd_len1020_factors_2_17_2_3_5_wgs_204_tpt_68_halfLds_sp_ip_CI_unitstride_sbrr_dirReg
                                        ; -- End function
	.section	.AMDGPU.csdata,"",@progbits
; Kernel info:
; codeLenInByte = 13924
; NumSgprs: 34
; NumVgprs: 112
; ScratchSize: 0
; MemoryBound: 0
; FloatMode: 240
; IeeeMode: 1
; LDSByteSize: 0 bytes/workgroup (compile time only)
; SGPRBlocks: 4
; VGPRBlocks: 13
; NumSGPRsForWavesPerEU: 34
; NumVGPRsForWavesPerEU: 112
; Occupancy: 12
; WaveLimiterHint : 1
; COMPUTE_PGM_RSRC2:SCRATCH_EN: 0
; COMPUTE_PGM_RSRC2:USER_SGPR: 2
; COMPUTE_PGM_RSRC2:TRAP_HANDLER: 0
; COMPUTE_PGM_RSRC2:TGID_X_EN: 1
; COMPUTE_PGM_RSRC2:TGID_Y_EN: 0
; COMPUTE_PGM_RSRC2:TGID_Z_EN: 0
; COMPUTE_PGM_RSRC2:TIDIG_COMP_CNT: 0
	.text
	.p2alignl 7, 3214868480
	.fill 96, 4, 3214868480
	.type	__hip_cuid_3cef9b3e7b58ee4e,@object ; @__hip_cuid_3cef9b3e7b58ee4e
	.section	.bss,"aw",@nobits
	.globl	__hip_cuid_3cef9b3e7b58ee4e
__hip_cuid_3cef9b3e7b58ee4e:
	.byte	0                               ; 0x0
	.size	__hip_cuid_3cef9b3e7b58ee4e, 1

	.ident	"AMD clang version 19.0.0git (https://github.com/RadeonOpenCompute/llvm-project roc-6.4.0 25133 c7fe45cf4b819c5991fe208aaa96edf142730f1d)"
	.section	".note.GNU-stack","",@progbits
	.addrsig
	.addrsig_sym __hip_cuid_3cef9b3e7b58ee4e
	.amdgpu_metadata
---
amdhsa.kernels:
  - .args:
      - .actual_access:  read_only
        .address_space:  global
        .offset:         0
        .size:           8
        .value_kind:     global_buffer
      - .offset:         8
        .size:           8
        .value_kind:     by_value
      - .actual_access:  read_only
        .address_space:  global
        .offset:         16
        .size:           8
        .value_kind:     global_buffer
      - .actual_access:  read_only
        .address_space:  global
        .offset:         24
        .size:           8
        .value_kind:     global_buffer
      - .offset:         32
        .size:           8
        .value_kind:     by_value
      - .actual_access:  read_only
        .address_space:  global
        .offset:         40
        .size:           8
        .value_kind:     global_buffer
      - .actual_access:  read_only
        .address_space:  global
        .offset:         48
        .size:           8
        .value_kind:     global_buffer
      - .offset:         56
        .size:           4
        .value_kind:     by_value
      - .actual_access:  read_only
        .address_space:  global
        .offset:         64
        .size:           8
        .value_kind:     global_buffer
      - .actual_access:  read_only
        .address_space:  global
        .offset:         72
        .size:           8
        .value_kind:     global_buffer
      - .address_space:  global
        .offset:         80
        .size:           8
        .value_kind:     global_buffer
    .group_segment_fixed_size: 0
    .kernarg_segment_align: 8
    .kernarg_segment_size: 88
    .language:       OpenCL C
    .language_version:
      - 2
      - 0
    .max_flat_workgroup_size: 204
    .name:           fft_rtc_fwd_len1020_factors_2_17_2_3_5_wgs_204_tpt_68_halfLds_sp_ip_CI_unitstride_sbrr_dirReg
    .private_segment_fixed_size: 0
    .sgpr_count:     34
    .sgpr_spill_count: 0
    .symbol:         fft_rtc_fwd_len1020_factors_2_17_2_3_5_wgs_204_tpt_68_halfLds_sp_ip_CI_unitstride_sbrr_dirReg.kd
    .uniform_work_group_size: 1
    .uses_dynamic_stack: false
    .vgpr_count:     112
    .vgpr_spill_count: 0
    .wavefront_size: 32
    .workgroup_processor_mode: 1
amdhsa.target:   amdgcn-amd-amdhsa--gfx1201
amdhsa.version:
  - 1
  - 2
...

	.end_amdgpu_metadata
